;; amdgpu-corpus repo=ROCm/rocFFT kind=compiled arch=gfx950 opt=O3
	.text
	.amdgcn_target "amdgcn-amd-amdhsa--gfx950"
	.amdhsa_code_object_version 6
	.protected	fft_rtc_back_len850_factors_10_5_17_wgs_85_tpt_85_sp_op_CI_CI_sbrr_dirReg ; -- Begin function fft_rtc_back_len850_factors_10_5_17_wgs_85_tpt_85_sp_op_CI_CI_sbrr_dirReg
	.globl	fft_rtc_back_len850_factors_10_5_17_wgs_85_tpt_85_sp_op_CI_CI_sbrr_dirReg
	.p2align	8
	.type	fft_rtc_back_len850_factors_10_5_17_wgs_85_tpt_85_sp_op_CI_CI_sbrr_dirReg,@function
fft_rtc_back_len850_factors_10_5_17_wgs_85_tpt_85_sp_op_CI_CI_sbrr_dirReg: ; @fft_rtc_back_len850_factors_10_5_17_wgs_85_tpt_85_sp_op_CI_CI_sbrr_dirReg
; %bb.0:
	s_load_dwordx4 s[12:15], s[0:1], 0x18
	s_load_dwordx4 s[8:11], s[0:1], 0x0
	;; [unrolled: 1-line block ×3, first 2 shown]
	v_mul_u32_u24_e32 v1, 0x304, v0
	v_add_u32_sdwa v6, s2, v1 dst_sel:DWORD dst_unused:UNUSED_PAD src0_sel:DWORD src1_sel:WORD_1
	s_waitcnt lgkmcnt(0)
	s_load_dwordx2 s[18:19], s[12:13], 0x0
	s_load_dwordx2 s[16:17], s[14:15], 0x0
	v_mov_b32_e32 v4, 0
	v_cmp_lt_u64_e64 s[2:3], s[10:11], 2
	v_mov_b32_e32 v7, v4
	s_and_b64 vcc, exec, s[2:3]
	v_mov_b64_e32 v[2:3], 0
	s_cbranch_vccnz .LBB0_8
; %bb.1:
	s_load_dwordx2 s[2:3], s[0:1], 0x10
	s_add_u32 s20, s14, 8
	s_addc_u32 s21, s15, 0
	s_add_u32 s22, s12, 8
	s_addc_u32 s23, s13, 0
	s_waitcnt lgkmcnt(0)
	s_add_u32 s24, s2, 8
	v_mov_b64_e32 v[2:3], 0
	s_addc_u32 s25, s3, 0
	s_mov_b64 s[26:27], 1
	v_mov_b64_e32 v[36:37], v[2:3]
.LBB0_2:                                ; =>This Inner Loop Header: Depth=1
	s_load_dwordx2 s[28:29], s[24:25], 0x0
                                        ; implicit-def: $vgpr38_vgpr39
	s_waitcnt lgkmcnt(0)
	v_or_b32_e32 v5, s29, v7
	v_cmp_ne_u64_e32 vcc, 0, v[4:5]
	s_and_saveexec_b64 s[2:3], vcc
	s_xor_b64 s[30:31], exec, s[2:3]
	s_cbranch_execz .LBB0_4
; %bb.3:                                ;   in Loop: Header=BB0_2 Depth=1
	v_cvt_f32_u32_e32 v1, s28
	v_cvt_f32_u32_e32 v5, s29
	s_sub_u32 s2, 0, s28
	s_subb_u32 s3, 0, s29
	v_fmac_f32_e32 v1, 0x4f800000, v5
	v_rcp_f32_e32 v1, v1
	s_nop 0
	v_mul_f32_e32 v1, 0x5f7ffffc, v1
	v_mul_f32_e32 v5, 0x2f800000, v1
	v_trunc_f32_e32 v5, v5
	v_fmac_f32_e32 v1, 0xcf800000, v5
	v_cvt_u32_f32_e32 v5, v5
	v_cvt_u32_f32_e32 v1, v1
	v_mul_lo_u32 v8, s2, v5
	v_mul_hi_u32 v10, s2, v1
	v_mul_lo_u32 v9, s3, v1
	v_add_u32_e32 v10, v10, v8
	v_mul_lo_u32 v12, s2, v1
	v_add_u32_e32 v13, v10, v9
	v_mul_hi_u32 v8, v1, v12
	v_mul_hi_u32 v11, v1, v13
	v_mul_lo_u32 v10, v1, v13
	v_mov_b32_e32 v9, v4
	v_lshl_add_u64 v[8:9], v[8:9], 0, v[10:11]
	v_mul_hi_u32 v11, v5, v12
	v_mul_lo_u32 v12, v5, v12
	v_add_co_u32_e32 v8, vcc, v8, v12
	v_mul_hi_u32 v10, v5, v13
	s_nop 0
	v_addc_co_u32_e32 v8, vcc, v9, v11, vcc
	v_mov_b32_e32 v9, v4
	s_nop 0
	v_addc_co_u32_e32 v11, vcc, 0, v10, vcc
	v_mul_lo_u32 v10, v5, v13
	v_lshl_add_u64 v[8:9], v[8:9], 0, v[10:11]
	v_add_co_u32_e32 v1, vcc, v1, v8
	v_mul_lo_u32 v10, s2, v1
	s_nop 0
	v_addc_co_u32_e32 v5, vcc, v5, v9, vcc
	v_mul_lo_u32 v8, s2, v5
	v_mul_hi_u32 v9, s2, v1
	v_add_u32_e32 v8, v9, v8
	v_mul_lo_u32 v9, s3, v1
	v_add_u32_e32 v12, v8, v9
	v_mul_hi_u32 v14, v5, v10
	v_mul_lo_u32 v15, v5, v10
	v_mul_hi_u32 v9, v1, v12
	v_mul_lo_u32 v8, v1, v12
	v_mul_hi_u32 v10, v1, v10
	v_mov_b32_e32 v11, v4
	v_lshl_add_u64 v[8:9], v[10:11], 0, v[8:9]
	v_add_co_u32_e32 v8, vcc, v8, v15
	v_mul_hi_u32 v13, v5, v12
	s_nop 0
	v_addc_co_u32_e32 v8, vcc, v9, v14, vcc
	v_mul_lo_u32 v10, v5, v12
	s_nop 0
	v_addc_co_u32_e32 v11, vcc, 0, v13, vcc
	v_mov_b32_e32 v9, v4
	v_lshl_add_u64 v[8:9], v[8:9], 0, v[10:11]
	v_add_co_u32_e32 v1, vcc, v1, v8
	v_mul_hi_u32 v10, v6, v1
	s_nop 0
	v_addc_co_u32_e32 v5, vcc, v5, v9, vcc
	v_mad_u64_u32 v[8:9], s[2:3], v6, v5, 0
	v_mov_b32_e32 v11, v4
	v_lshl_add_u64 v[8:9], v[10:11], 0, v[8:9]
	v_mad_u64_u32 v[12:13], s[2:3], v7, v1, 0
	v_add_co_u32_e32 v1, vcc, v8, v12
	v_mad_u64_u32 v[10:11], s[2:3], v7, v5, 0
	s_nop 0
	v_addc_co_u32_e32 v8, vcc, v9, v13, vcc
	v_mov_b32_e32 v9, v4
	s_nop 0
	v_addc_co_u32_e32 v11, vcc, 0, v11, vcc
	v_lshl_add_u64 v[8:9], v[8:9], 0, v[10:11]
	v_mul_lo_u32 v1, s29, v8
	v_mul_lo_u32 v5, s28, v9
	v_mad_u64_u32 v[10:11], s[2:3], s28, v8, 0
	v_add3_u32 v1, v11, v5, v1
	v_sub_u32_e32 v5, v7, v1
	v_mov_b32_e32 v11, s29
	v_sub_co_u32_e32 v14, vcc, v6, v10
	v_lshl_add_u64 v[12:13], v[8:9], 0, 1
	s_nop 0
	v_subb_co_u32_e64 v5, s[2:3], v5, v11, vcc
	v_subrev_co_u32_e64 v10, s[2:3], s28, v14
	v_subb_co_u32_e32 v1, vcc, v7, v1, vcc
	s_nop 0
	v_subbrev_co_u32_e64 v5, s[2:3], 0, v5, s[2:3]
	v_cmp_le_u32_e64 s[2:3], s29, v5
	v_cmp_le_u32_e32 vcc, s29, v1
	s_nop 0
	v_cndmask_b32_e64 v11, 0, -1, s[2:3]
	v_cmp_le_u32_e64 s[2:3], s28, v10
	s_nop 1
	v_cndmask_b32_e64 v10, 0, -1, s[2:3]
	v_cmp_eq_u32_e64 s[2:3], s29, v5
	s_nop 1
	v_cndmask_b32_e64 v5, v11, v10, s[2:3]
	v_lshl_add_u64 v[10:11], v[8:9], 0, 2
	v_cmp_ne_u32_e64 s[2:3], 0, v5
	s_nop 1
	v_cndmask_b32_e64 v5, v13, v11, s[2:3]
	v_cndmask_b32_e64 v11, 0, -1, vcc
	v_cmp_le_u32_e32 vcc, s28, v14
	s_nop 1
	v_cndmask_b32_e64 v13, 0, -1, vcc
	v_cmp_eq_u32_e32 vcc, s29, v1
	s_nop 1
	v_cndmask_b32_e32 v1, v11, v13, vcc
	v_cmp_ne_u32_e32 vcc, 0, v1
	v_cndmask_b32_e64 v1, v12, v10, s[2:3]
	s_nop 0
	v_cndmask_b32_e32 v39, v9, v5, vcc
	v_cndmask_b32_e32 v38, v8, v1, vcc
.LBB0_4:                                ;   in Loop: Header=BB0_2 Depth=1
	s_andn2_saveexec_b64 s[2:3], s[30:31]
	s_cbranch_execz .LBB0_6
; %bb.5:                                ;   in Loop: Header=BB0_2 Depth=1
	v_cvt_f32_u32_e32 v1, s28
	s_sub_i32 s30, 0, s28
	v_mov_b32_e32 v39, v4
	v_rcp_iflag_f32_e32 v1, v1
	s_nop 0
	v_mul_f32_e32 v1, 0x4f7ffffe, v1
	v_cvt_u32_f32_e32 v1, v1
	v_mul_lo_u32 v5, s30, v1
	v_mul_hi_u32 v5, v1, v5
	v_add_u32_e32 v1, v1, v5
	v_mul_hi_u32 v1, v6, v1
	v_mul_lo_u32 v5, v1, s28
	v_sub_u32_e32 v5, v6, v5
	v_add_u32_e32 v8, 1, v1
	v_subrev_u32_e32 v9, s28, v5
	v_cmp_le_u32_e32 vcc, s28, v5
	s_nop 1
	v_cndmask_b32_e32 v5, v5, v9, vcc
	v_cndmask_b32_e32 v1, v1, v8, vcc
	v_add_u32_e32 v8, 1, v1
	v_cmp_le_u32_e32 vcc, s28, v5
	s_nop 1
	v_cndmask_b32_e32 v38, v1, v8, vcc
.LBB0_6:                                ;   in Loop: Header=BB0_2 Depth=1
	s_or_b64 exec, exec, s[2:3]
	v_mad_u64_u32 v[8:9], s[2:3], v38, s28, 0
	s_load_dwordx2 s[2:3], s[22:23], 0x0
	v_mul_lo_u32 v1, v39, s28
	v_mul_lo_u32 v5, v38, s29
	s_load_dwordx2 s[28:29], s[20:21], 0x0
	s_add_u32 s26, s26, 1
	v_add3_u32 v1, v9, v5, v1
	v_sub_co_u32_e32 v5, vcc, v6, v8
	s_addc_u32 s27, s27, 0
	s_nop 0
	v_subb_co_u32_e32 v1, vcc, v7, v1, vcc
	s_add_u32 s20, s20, 8
	s_waitcnt lgkmcnt(0)
	v_mul_lo_u32 v6, s2, v1
	v_mul_lo_u32 v7, s3, v5
	v_mad_u64_u32 v[2:3], s[2:3], s2, v5, v[2:3]
	s_addc_u32 s21, s21, 0
	v_add3_u32 v3, v7, v3, v6
	v_mul_lo_u32 v1, s28, v1
	v_mul_lo_u32 v6, s29, v5
	v_mad_u64_u32 v[36:37], s[2:3], s28, v5, v[36:37]
	s_add_u32 s22, s22, 8
	v_add3_u32 v37, v6, v37, v1
	s_addc_u32 s23, s23, 0
	v_mov_b64_e32 v[6:7], s[10:11]
	s_add_u32 s24, s24, 8
	v_cmp_ge_u64_e32 vcc, s[26:27], v[6:7]
	s_addc_u32 s25, s25, 0
	s_cbranch_vccnz .LBB0_9
; %bb.7:                                ;   in Loop: Header=BB0_2 Depth=1
	v_mov_b64_e32 v[6:7], v[38:39]
	s_branch .LBB0_2
.LBB0_8:
	v_mov_b64_e32 v[36:37], v[2:3]
	v_mov_b64_e32 v[38:39], v[6:7]
.LBB0_9:
	s_load_dwordx2 s[0:1], s[0:1], 0x28
	s_lshl_b64 s[10:11], s[10:11], 3
	s_add_u32 s2, s14, s10
	s_addc_u32 s3, s15, s11
                                        ; implicit-def: $vgpr49
                                        ; implicit-def: $vgpr1
	s_waitcnt lgkmcnt(0)
	v_cmp_gt_u64_e32 vcc, s[0:1], v[38:39]
	v_cmp_le_u64_e64 s[0:1], s[0:1], v[38:39]
	s_and_saveexec_b64 s[14:15], s[0:1]
	s_xor_b64 s[0:1], exec, s[14:15]
; %bb.10:
	s_mov_b32 s14, 0x3030304
	v_mul_hi_u32 v1, v0, s14
	v_mul_u32_u24_e32 v1, 0x55, v1
	v_sub_u32_e32 v49, v0, v1
	v_add_u32_e32 v1, 0x55, v49
                                        ; implicit-def: $vgpr0
                                        ; implicit-def: $vgpr2_vgpr3
; %bb.11:
	s_or_saveexec_b64 s[0:1], s[0:1]
                                        ; implicit-def: $vgpr14
                                        ; implicit-def: $vgpr16
                                        ; implicit-def: $vgpr18
                                        ; implicit-def: $vgpr20
                                        ; implicit-def: $vgpr22
                                        ; implicit-def: $vgpr6
                                        ; implicit-def: $vgpr4
                                        ; implicit-def: $vgpr8
                                        ; implicit-def: $vgpr10
                                        ; implicit-def: $vgpr12
	s_xor_b64 exec, exec, s[0:1]
	s_cbranch_execz .LBB0_13
; %bb.12:
	s_add_u32 s10, s12, s10
	s_addc_u32 s11, s13, s11
	s_load_dwordx2 s[10:11], s[10:11], 0x0
	s_mov_b32 s12, 0x3030304
	s_waitcnt lgkmcnt(0)
	v_mul_lo_u32 v1, s11, v38
	v_mul_lo_u32 v6, s10, v39
	v_mad_u64_u32 v[4:5], s[10:11], s10, v38, 0
	v_add3_u32 v5, v5, v6, v1
	v_mul_hi_u32 v1, v0, s12
	v_mul_u32_u24_e32 v1, 0x55, v1
	v_sub_u32_e32 v49, v0, v1
	v_mad_u64_u32 v[0:1], s[10:11], s18, v49, 0
	v_mov_b32_e32 v6, v1
	v_mad_u64_u32 v[6:7], s[10:11], s19, v49, v[6:7]
	v_lshl_add_u64 v[4:5], v[4:5], 3, s[4:5]
	v_mov_b32_e32 v1, v6
	v_lshl_add_u64 v[2:3], v[2:3], 3, v[4:5]
	v_lshl_add_u64 v[24:25], v[0:1], 3, v[2:3]
	v_add_u32_e32 v1, 0x55, v49
	v_mad_u64_u32 v[4:5], s[4:5], s18, v1, 0
	v_mov_b32_e32 v0, v5
	v_mad_u64_u32 v[6:7], s[4:5], s19, v1, v[0:1]
	v_mov_b32_e32 v5, v6
	v_add_u32_e32 v6, 0xaa, v49
	v_lshl_add_u64 v[26:27], v[4:5], 3, v[2:3]
	v_mad_u64_u32 v[4:5], s[4:5], s18, v6, 0
	v_mov_b32_e32 v0, v5
	v_mad_u64_u32 v[6:7], s[4:5], s19, v6, v[0:1]
	v_mov_b32_e32 v5, v6
	v_add_u32_e32 v6, 0xff, v49
	v_lshl_add_u64 v[28:29], v[4:5], 3, v[2:3]
	;; [unrolled: 6-line block ×8, first 2 shown]
	v_mad_u64_u32 v[4:5], s[4:5], s18, v6, 0
	v_mov_b32_e32 v0, v5
	v_mad_u64_u32 v[6:7], s[4:5], s19, v6, v[0:1]
	v_mov_b32_e32 v5, v6
	v_lshl_add_u64 v[2:3], v[4:5], 3, v[2:3]
	global_load_dwordx2 v[14:15], v[24:25], off
	global_load_dwordx2 v[6:7], v[26:27], off
	;; [unrolled: 1-line block ×10, first 2 shown]
.LBB0_13:
	s_or_b64 exec, exec, s[0:1]
	s_waitcnt vmcnt(3)
	v_pk_add_f32 v[34:35], v[18:19], v[20:21]
	s_waitcnt vmcnt(1)
	v_pk_add_f32 v[40:41], v[16:17], v[22:23] neg_lo:[0,1] neg_hi:[0,1]
	s_mov_b32 s0, 0x3f737871
	v_mov_b32_e32 v28, v4
	s_waitcnt vmcnt(0)
	v_mov_b32_e32 v29, v12
	v_mov_b32_e32 v30, v8
	;; [unrolled: 1-line block ×3, first 2 shown]
	v_pk_fma_f32 v[34:35], v[34:35], 0.5, v[14:15] op_sel_hi:[1,0,1] neg_lo:[1,0,0] neg_hi:[1,0,0]
	v_pk_mul_f32 v[42:43], v[40:41], s[0:1] op_sel_hi:[1,0]
	v_pk_add_f32 v[44:45], v[18:19], v[20:21] neg_lo:[0,1] neg_hi:[0,1]
	s_mov_b32 s10, 0x3f167918
	v_pk_add_f32 v[50:51], v[16:17], v[18:19] neg_lo:[0,1] neg_hi:[0,1]
	v_pk_add_f32 v[52:53], v[22:23], v[20:21] neg_lo:[0,1] neg_hi:[0,1]
	v_pk_add_f32 v[24:25], v[14:15], v[16:17]
	v_pk_add_f32 v[28:29], v[28:29], v[30:31] neg_lo:[0,1] neg_hi:[0,1]
	v_pk_mul_f32 v[46:47], v[44:45], s[10:11] op_sel_hi:[1,0]
	v_pk_add_f32 v[50:51], v[50:51], v[52:53]
	v_pk_add_f32 v[52:53], v[34:35], v[42:43] op_sel:[0,1] op_sel_hi:[1,0] neg_lo:[0,1] neg_hi:[0,1]
	v_pk_add_f32 v[34:35], v[34:35], v[42:43] op_sel:[0,1] op_sel_hi:[1,0]
	v_mov_b32_e32 v0, v29
	v_pk_add_f32 v[24:25], v[24:25], v[18:19]
	v_pk_add_f32 v[34:35], v[34:35], v[46:47] op_sel:[0,1] op_sel_hi:[1,0]
	v_pk_add_f32 v[42:43], v[52:53], v[46:47] op_sel:[0,1] op_sel_hi:[1,0] neg_lo:[0,1] neg_hi:[0,1]
	s_load_dwordx2 s[4:5], s[2:3], 0x0
	v_pk_add_f32 v[2:3], v[8:9], v[10:11]
	v_mov_b32_e32 v48, v6
	v_pk_add_f32 v[28:29], v[28:29], v[0:1]
	v_mov_b32_e32 v56, v7
	v_pk_add_f32 v[24:25], v[24:25], v[20:21]
	s_mov_b32 s2, 0x3e9e377a
	v_mov_b32_e32 v46, v42
	v_mov_b32_e32 v47, v35
	v_pk_add_f32 v[52:53], v[16:17], v[22:23]
	v_pk_add_f32 v[16:17], v[18:19], v[16:17] neg_lo:[0,1] neg_hi:[0,1]
	v_pk_add_f32 v[18:19], v[20:21], v[22:23] neg_lo:[0,1] neg_hi:[0,1]
	v_pk_add_f32 v[20:21], v[8:9], v[10:11] neg_lo:[0,1] neg_hi:[0,1]
	v_fmac_f32_e32 v48, -0.5, v2
	v_fmac_f32_e32 v56, -0.5, v3
	v_mov_b32_e32 v2, v5
	v_mov_b32_e32 v3, v13
	;; [unrolled: 1-line block ×4, first 2 shown]
	v_pk_fma_f32 v[46:47], v[50:51], s[2:3], v[46:47] op_sel_hi:[1,0,1]
	v_mov_b32_e32 v29, v21
	s_mov_b32 s3, s10
	v_pk_add_f32 v[2:3], v[2:3], v[30:31] neg_lo:[0,1] neg_hi:[0,1]
	v_pk_add_f32 v[24:25], v[24:25], v[22:23]
	v_pk_mul_f32 v[22:23], v[28:29], s[2:3]
	v_pk_add_f32 v[28:29], v[4:5], v[12:13]
	v_pk_add_f32 v[26:27], v[6:7], v[4:5]
	v_mov_b32_e32 v0, v3
	v_pk_add_f32 v[16:17], v[16:17], v[18:19]
	v_pk_add_f32 v[18:19], v[4:5], v[12:13] neg_lo:[0,1] neg_hi:[0,1]
	v_pk_fma_f32 v[6:7], v[28:29], 0.5, v[6:7] op_sel_hi:[1,0,1] neg_lo:[1,0,0] neg_hi:[1,0,0]
	v_pk_mul_f32 v[28:29], v[20:21], s[0:1] op_sel_hi:[1,0]
	v_pk_add_f32 v[30:31], v[2:3], v[0:1]
	v_mul_u32_u24_e32 v0, 10, v49
	v_pk_add_f32 v[26:27], v[26:27], v[8:9]
	v_pk_fma_f32 v[14:15], v[52:53], 0.5, v[14:15] op_sel_hi:[1,0,1] neg_lo:[1,0,0] neg_hi:[1,0,0]
	v_pk_add_f32 v[52:53], v[6:7], v[28:29] op_sel:[0,1] op_sel_hi:[1,0] neg_lo:[0,1] neg_hi:[0,1]
	v_pk_mul_f32 v[54:55], v[18:19], s[10:11] op_sel_hi:[1,0]
	v_pk_add_f32 v[4:5], v[8:9], v[4:5] neg_lo:[0,1] neg_hi:[0,1]
	v_pk_add_f32 v[8:9], v[10:11], v[12:13] neg_lo:[0,1] neg_hi:[0,1]
	v_pk_add_f32 v[6:7], v[6:7], v[28:29] op_sel:[0,1] op_sel_hi:[1,0]
	v_lshl_add_u32 v2, v0, 3, 0
	v_fmamk_f32 v0, v19, 0xbf737871, v48
	v_fmac_f32_e32 v48, 0x3f737871, v19
	v_pk_add_f32 v[52:53], v[54:55], v[52:53] op_sel:[1,0] op_sel_hi:[0,1]
	v_pk_add_f32 v[4:5], v[4:5], v[8:9]
	v_pk_add_f32 v[6:7], v[6:7], v[54:55] op_sel:[0,1] op_sel_hi:[1,0] neg_lo:[0,1] neg_hi:[0,1]
	v_sub_f32_e32 v0, v0, v23
	v_add_f32_e32 v3, v23, v48
	v_pk_fma_f32 v[8:9], v[4:5], s[2:3], v[52:53] op_sel_hi:[1,0,1]
	v_mov_b32_e32 v52, v6
	v_add_f32_e32 v0, v22, v0
	v_add_f32_e32 v22, v22, v3
	v_fmamk_f32 v3, v18, 0x3f737871, v56
	v_mov_b32_e32 v31, v20
	v_fmac_f32_e32 v56, 0xbf737871, v18
	v_pk_fma_f32 v[18:19], v[4:5], s[2:3], v[52:53] op_sel_hi:[1,0,1]
	v_pk_add_f32 v[26:27], v[26:27], v[10:11]
	v_pk_mul_f32 v[10:11], v[30:31], s[2:3]
	v_pk_fma_f32 v[4:5], v[4:5], s[2:3], v[6:7] op_sel_hi:[1,0,1]
	v_pk_mul_f32 v[6:7], v[18:19], s[0:1] op_sel_hi:[1,0]
	v_add_f32_e32 v3, v11, v3
	v_pk_fma_f32 v[20:21], v[18:19], s[2:3], v[6:7] op_sel:[0,0,1] op_sel_hi:[1,0,0] neg_lo:[0,0,1] neg_hi:[0,0,1]
	v_pk_fma_f32 v[6:7], v[18:19], s[2:3], v[6:7] op_sel:[0,0,1] op_sel_hi:[1,0,0]
	s_mov_b32 s14, 0x3f4f1bbd
	v_pk_add_f32 v[26:27], v[26:27], v[12:13]
	v_add_f32_e32 v12, v10, v3
	v_mov_b32_e32 v21, v7
	v_pk_mul_f32 v[6:7], v[44:45], s[0:1] op_sel_hi:[1,0]
	v_pk_mul_f32 v[18:19], v[40:41], s[10:11] op_sel_hi:[1,0]
	s_mov_b32 s11, s14
	v_pk_add_f32 v[28:29], v[14:15], v[6:7] op_sel:[0,1] op_sel_hi:[1,0]
	s_mov_b32 s15, s10
	v_pk_mul_f32 v[12:13], v[12:13], s[10:11] op_sel_hi:[0,1]
	v_pk_add_f32 v[6:7], v[14:15], v[6:7] op_sel:[0,1] op_sel_hi:[1,0] neg_lo:[0,1] neg_hi:[0,1]
	v_pk_add_f32 v[14:15], v[28:29], v[18:19] op_sel:[0,1] op_sel_hi:[1,0] neg_lo:[0,1] neg_hi:[0,1]
	v_pk_fma_f32 v[28:29], v[0:1], s[14:15], v[12:13] neg_lo:[0,0,1] neg_hi:[0,0,1]
	v_pk_fma_f32 v[12:13], v[0:1], s[14:15], v[12:13] op_sel_hi:[0,1,1]
	s_mov_b32 s14, 0xbe9e377a
	s_mov_b32 s12, 0xbf737871
	v_pk_add_f32 v[6:7], v[6:7], v[18:19] op_sel:[0,1] op_sel_hi:[1,0]
	s_mov_b32 s13, s14
	v_sub_f32_e32 v3, v56, v11
	v_mov_b32_e32 v18, v14
	v_mov_b32_e32 v19, v7
	s_mov_b32 s15, s0
	v_pk_mul_f32 v[4:5], v[4:5], s[12:13] op_sel:[1,0]
	v_mov_b32_e32 v7, v15
	s_movk_i32 s1, 0xcd
	v_add_f32_e32 v10, v10, v3
	v_pk_fma_f32 v[18:19], v[16:17], s[2:3], v[18:19] op_sel_hi:[1,0,1]
	v_pk_fma_f32 v[4:5], v[8:9], s[14:15], v[4:5] op_sel_hi:[0,1,1]
	;; [unrolled: 1-line block ×3, first 2 shown]
	v_mul_lo_u16_sdwa v0, v49, s1 dst_sel:DWORD dst_unused:UNUSED_PAD src0_sel:BYTE_0 src1_sel:DWORD
	v_mov_b32_e32 v29, v13
	v_pk_add_f32 v[30:31], v[18:19], v[20:21]
	v_pk_add_f32 v[8:9], v[6:7], v[4:5]
	v_mov_b32_e32 v35, v43
	s_mov_b32 s12, 0xbf4f1bbd
	s_mov_b32 s13, s10
	v_pk_mul_f32 v[10:11], v[10:11], s[10:11] op_sel_hi:[0,1]
	v_lshrrev_b16_e32 v48, 11, v0
	v_pk_add_f32 v[32:33], v[24:25], v[26:27]
	v_pk_add_f32 v[12:13], v[46:47], v[28:29]
	ds_write2_b64 v2, v[30:31], v[8:9] offset0:2 offset1:3
	v_pk_fma_f32 v[8:9], v[50:51], s[2:3], v[34:35] op_sel_hi:[1,0,1]
	v_pk_fma_f32 v[10:11], v[22:23], s[12:13], v[10:11] op_sel_hi:[0,1,1] neg_lo:[0,0,1] neg_hi:[0,0,1]
	v_mul_lo_u16_e32 v0, 10, v48
	ds_write2_b64 v2, v[32:33], v[12:13] offset1:1
	v_pk_add_f32 v[12:13], v[8:9], v[10:11]
	v_pk_add_f32 v[14:15], v[24:25], v[26:27] neg_lo:[0,1] neg_hi:[0,1]
	v_sub_u16_e32 v58, v49, v0
	v_mov_b32_e32 v0, 5
	ds_write2_b64 v2, v[12:13], v[14:15] offset0:4 offset1:5
	v_pk_add_f32 v[12:13], v[46:47], v[28:29] neg_lo:[0,1] neg_hi:[0,1]
	v_pk_add_f32 v[14:15], v[18:19], v[20:21] neg_lo:[0,1] neg_hi:[0,1]
	v_pk_add_f32 v[4:5], v[6:7], v[4:5] neg_lo:[0,1] neg_hi:[0,1]
	v_pk_add_f32 v[6:7], v[8:9], v[10:11] neg_lo:[0,1] neg_hi:[0,1]
	v_lshlrev_b32_sdwa v3, v0, v58 dst_sel:DWORD dst_unused:UNUSED_PAD src0_sel:DWORD src1_sel:BYTE_0
	ds_write2_b64 v2, v[12:13], v[14:15] offset0:6 offset1:7
	ds_write2_b64 v2, v[4:5], v[6:7] offset0:8 offset1:9
	s_waitcnt lgkmcnt(0)
	s_barrier
	global_load_dwordx4 v[4:7], v3, s[8:9]
	global_load_dwordx4 v[8:11], v3, s[8:9] offset:16
	v_mul_lo_u16_sdwa v3, v1, s1 dst_sel:DWORD dst_unused:UNUSED_PAD src0_sel:BYTE_0 src1_sel:DWORD
	v_lshrrev_b16_e32 v59, 11, v3
	v_mul_lo_u16_e32 v3, 10, v59
	v_sub_u16_e32 v60, v1, v3
	v_lshlrev_b32_sdwa v0, v0, v60 dst_sel:DWORD dst_unused:UNUSED_PAD src0_sel:DWORD src1_sel:BYTE_0
	global_load_dwordx4 v[12:15], v0, s[8:9]
	global_load_dwordx4 v[16:19], v0, s[8:9] offset:16
	s_movk_i32 s1, 0xffb8
	v_mad_i32_i24 v0, v49, s1, v2
	v_add_u32_e32 v3, 0x400, v0
	ds_read2_b64 v[24:27], v3 offset0:127 offset1:212
	v_add_u32_e32 v3, 0x800, v0
	ds_read2_b64 v[20:23], v0 offset1:170
	ds_read2_b64 v[28:31], v3 offset0:169 offset1:254
	v_add_u32_e32 v3, 0x1000, v0
	ds_read2_b64 v[32:35], v3 offset0:83 offset1:168
	v_lshl_add_u32 v3, v1, 3, 0
	s_mov_b32 s1, s10
	s_waitcnt vmcnt(3) lgkmcnt(2)
	v_mul_f32_e32 v1, v5, v22
	v_fma_f32 v52, v4, v23, -v1
	s_waitcnt vmcnt(2) lgkmcnt(0)
	v_mul_f32_e32 v1, v11, v34
	v_mul_f32_e32 v40, v5, v23
	v_fma_f32 v5, v10, v35, -v1
	v_fmac_f32_e32 v40, v4, v22
	v_mul_f32_e32 v4, v11, v35
	v_add_f32_e32 v1, v52, v5
	v_fmac_f32_e32 v4, v10, v34
	v_sub_f32_e32 v11, v52, v5
	v_mul_f32_e32 v23, 0.5, v1
	ds_read_b64 v[0:1], v0 offset:6120
	ds_read_b64 v[34:35], v3
	v_mov_b32_e32 v10, v25
	s_waitcnt vmcnt(1)
	v_pk_mul_f32 v[42:43], v[12:13], v[24:25] op_sel_hi:[1,0]
	v_add_f32_e32 v41, v40, v4
	v_pk_fma_f32 v[46:47], v[12:13], v[10:11], v[42:43] op_sel:[0,0,1] op_sel_hi:[1,1,0] neg_lo:[0,0,1] neg_hi:[0,0,1]
	v_pk_fma_f32 v[12:13], v[12:13], v[24:25], v[42:43] op_sel:[0,1,1] op_sel_hi:[1,1,0]
	v_mov_b32_e32 v10, v33
	v_mov_b32_e32 v47, v13
	v_pk_mul_f32 v[12:13], v[28:29], v[14:15] op_sel_hi:[0,1]
	v_pk_fma_f32 v[24:25], v[28:29], v[14:15], v[12:13] op_sel:[1,0,1] op_sel_hi:[1,1,0] neg_lo:[0,0,1] neg_hi:[0,0,1]
	v_pk_fma_f32 v[12:13], v[28:29], v[14:15], v[12:13] op_sel:[1,0,1] op_sel_hi:[1,1,0]
	s_waitcnt vmcnt(0)
	v_pk_mul_f32 v[14:15], v[32:33], v[16:17] op_sel_hi:[0,1]
	v_pk_fma_f32 v[28:29], v[10:11], v[16:17], v[14:15] op_sel:[0,0,1] op_sel_hi:[1,1,0] neg_lo:[0,0,1] neg_hi:[0,0,1]
	v_pk_fma_f32 v[14:15], v[32:33], v[16:17], v[14:15] op_sel:[1,0,1] op_sel_hi:[1,1,0]
	s_waitcnt lgkmcnt(1)
	v_pk_mul_f32 v[16:17], v[0:1], v[18:19] op_sel_hi:[0,1]
	v_pk_fma_f32 v[32:33], v[0:1], v[18:19], v[16:17] op_sel:[1,0,1] op_sel_hi:[1,1,0] neg_lo:[0,0,1] neg_hi:[0,0,1]
	v_pk_fma_f32 v[0:1], v[0:1], v[18:19], v[16:17] op_sel:[1,0,1] op_sel_hi:[1,1,0]
	v_mov_b32_e32 v25, v13
	v_mov_b32_e32 v33, v1
	v_pk_mul_f32 v[0:1], v[6:7], v[26:27] op_sel_hi:[1,0]
	v_mov_b32_e32 v29, v15
	v_pk_fma_f32 v[42:43], v[6:7], v[26:27], v[0:1] op_sel:[0,1,1] op_sel_hi:[1,1,0] neg_lo:[0,0,1] neg_hi:[0,0,1]
	v_pk_fma_f32 v[0:1], v[6:7], v[26:27], v[0:1] op_sel:[0,1,1] op_sel_hi:[1,1,0]
	v_pk_add_f32 v[6:7], v[46:47], v[32:33]
	v_pk_add_f32 v[44:45], v[28:29], v[32:33] neg_lo:[0,1] neg_hi:[0,1]
	s_waitcnt lgkmcnt(0)
	v_pk_fma_f32 v[26:27], v[6:7], 0.5, v[34:35] op_sel:[0,0,1] op_sel_hi:[1,0,0] neg_lo:[1,0,0] neg_hi:[1,0,0]
	v_pk_add_f32 v[6:7], v[24:25], v[46:47] neg_lo:[0,1] neg_hi:[0,1]
	v_mov_b32_e32 v43, v1
	v_pk_add_f32 v[56:57], v[6:7], v[44:45]
	v_pk_mul_f32 v[6:7], v[8:9], v[30:31] op_sel_hi:[1,0]
	v_fma_f32 v0, -0.5, v41, v20
	v_pk_fma_f32 v[44:45], v[8:9], v[30:31], v[6:7] op_sel:[0,1,1] op_sel_hi:[1,1,0] neg_lo:[0,0,1] neg_hi:[0,0,1]
	v_pk_fma_f32 v[6:7], v[8:9], v[30:31], v[6:7] op_sel:[0,1,1] op_sel_hi:[1,1,0]
	v_add_f32_e32 v12, v21, v52
	v_mov_b32_e32 v45, v7
	v_pk_add_f32 v[8:9], v[42:43], v[44:45] neg_lo:[0,1] neg_hi:[0,1]
	v_mov_b32_e32 v41, v21
	v_mov_b32_e32 v10, v8
	v_pk_mul_f32 v[30:31], v[10:11], s[0:1]
	v_sub_f32_e32 v10, v4, v7
	v_add_f32_e32 v6, v30, v0
	v_sub_f32_e32 v0, v0, v30
	v_sub_f32_e32 v50, v6, v31
	v_add_f32_e32 v51, v31, v0
	v_add_f32_e32 v0, v20, v40
	v_sub_f32_e32 v6, v40, v1
	v_add_f32_e32 v0, v0, v1
	v_add_f32_e32 v6, v6, v10
	v_sub_f32_e32 v1, v1, v40
	v_sub_f32_e32 v10, v7, v4
	v_pk_add_f32 v[30:31], v[42:43], v[44:45]
	v_add_f32_e32 v1, v1, v10
	v_pk_fma_f32 v[30:31], v[30:31], 0.5, v[20:21] op_sel:[0,0,1] op_sel_hi:[1,0,0] neg_lo:[1,0,0] neg_hi:[1,0,0]
	v_mul_f32_e32 v21, 0x3e9e377a, v6
	v_mov_b32_e32 v6, v7
	v_mov_b32_e32 v7, v44
	v_mul_f32_e32 v10, 0x3e9e377a, v1
	v_add_f32_e32 v1, v12, v42
	v_mov_b32_e32 v22, v4
	v_pk_add_f32 v[0:1], v[0:1], v[6:7]
	v_sub_f32_e32 v6, v44, v5
	v_pk_add_f32 v[0:1], v[0:1], v[4:5]
	v_sub_f32_e32 v4, v5, v44
	v_sub_f32_e32 v5, v42, v52
	v_pk_add_f32 v[22:23], v[40:41], v[22:23] neg_lo:[0,1] neg_hi:[0,1]
	v_sub_f32_e32 v44, v52, v42
	v_pk_add_f32 v[42:43], v[10:11], v[50:51] op_sel_hi:[0,1]
	v_mul_f32_e32 v7, 0x3f737871, v9
	v_add_f32_e32 v5, v5, v6
	v_mov_b32_e32 v6, 0x3f167918
	v_pk_mul_f32 v[50:51], v[22:23], s[10:11]
	v_pk_add_f32 v[16:17], v[34:35], v[46:47] op_sel:[1,0] op_sel_hi:[0,1]
	v_fmamk_f32 v40, v9, 0xbf737871, v23
	v_mov_b32_e32 v41, v50
	v_pk_add_f32 v[50:51], v[22:23], v[6:7]
	v_pk_mul_f32 v[52:53], v[8:9], s[10:11] op_sel_hi:[1,0]
	v_mul_f32_e32 v8, 0x3e9e377a, v5
	v_mov_b32_e32 v10, v22
	v_pk_fma_f32 v[6:7], v[22:23], v[6:7], v[40:41]
	v_pk_add_f32 v[40:41], v[50:51], v[40:41] neg_lo:[0,1] neg_hi:[0,1]
	v_mov_b32_e32 v45, v16
	v_mov_b32_e32 v5, v24
	;; [unrolled: 1-line block ×3, first 2 shown]
	v_pk_mul_f32 v[22:23], v[10:11], s[0:1] op_sel_hi:[1,0]
	v_mov_b32_e32 v7, v41
	v_pk_add_f32 v[4:5], v[44:45], v[4:5]
	v_pk_fma_f32 v[50:51], v[10:11], s[0:1], v[30:31] op_sel_hi:[1,0,1]
	v_pk_fma_f32 v[10:11], v[10:11], s[0:1], v[30:31] op_sel_hi:[1,0,1] neg_lo:[1,0,0] neg_hi:[1,0,0]
	v_pk_add_f32 v[6:7], v[8:9], v[6:7] op_sel_hi:[0,1]
	v_pk_mul_f32 v[8:9], v[4:5], s[2:3]
	v_pk_add_f32 v[4:5], v[4:5], v[2:3]
	v_mov_b32_e32 v16, v31
	v_mov_b32_e32 v12, v23
	v_pk_add_f32 v[50:51], v[50:51], v[52:53] op_sel:[0,1] op_sel_hi:[1,0]
	v_pk_add_f32 v[10:11], v[10:11], v[52:53] op_sel:[0,1] op_sel_hi:[1,0] neg_lo:[0,1] neg_hi:[0,1]
	v_mov_b32_e32 v9, v5
	v_pk_add_f32 v[4:5], v[16:17], v[12:13]
	v_mov_b32_e32 v53, v15
	v_mov_b32_e32 v51, v11
	;; [unrolled: 1-line block ×3, first 2 shown]
	v_pk_add_f32 v[4:5], v[4:5], v[52:53]
	v_mov_b32_e32 v12, v21
	v_mov_b32_e32 v13, v33
	v_pk_add_f32 v[44:45], v[20:21], v[50:51]
	v_pk_add_f32 v[50:51], v[4:5], v[12:13]
	v_mov_b32_e32 v11, v32
	v_pk_add_f32 v[4:5], v[24:25], v[28:29]
	v_pk_add_f32 v[18:19], v[46:47], v[32:33] neg_lo:[0,1] neg_hi:[0,1]
	v_pk_add_f32 v[14:15], v[8:9], v[10:11]
	v_pk_fma_f32 v[4:5], v[4:5], 0.5, v[34:35] op_sel:[0,0,1] op_sel_hi:[1,0,0] neg_lo:[1,0,0] neg_hi:[1,0,0]
	v_pk_add_f32 v[8:9], v[46:47], v[24:25] neg_lo:[0,1] neg_hi:[0,1]
	v_pk_add_f32 v[10:11], v[32:33], v[28:29] neg_lo:[0,1] neg_hi:[0,1]
	;; [unrolled: 1-line block ×3, first 2 shown]
	v_pk_add_f32 v[8:9], v[8:9], v[10:11]
	v_pk_fma_f32 v[10:11], v[18:19], s[0:1], v[4:5] op_sel:[1,0,0] op_sel_hi:[0,0,1]
	v_pk_fma_f32 v[4:5], v[18:19], s[0:1], v[4:5] op_sel:[1,0,0] op_sel_hi:[0,0,1] neg_lo:[1,0,0] neg_hi:[1,0,0]
	v_pk_fma_f32 v[10:11], v[54:55], s[10:11], v[10:11] op_sel:[1,0,0] op_sel_hi:[0,0,1]
	v_pk_fma_f32 v[4:5], v[54:55], s[10:11], v[4:5] op_sel:[1,0,0] op_sel_hi:[0,0,1] neg_lo:[1,0,0] neg_hi:[1,0,0]
	v_mov_b32_e32 v12, v10
	v_mov_b32_e32 v13, v5
	;; [unrolled: 1-line block ×3, first 2 shown]
	v_pk_fma_f32 v[52:53], v[8:9], s[2:3], v[12:13] op_sel_hi:[1,0,1]
	v_pk_fma_f32 v[12:13], v[8:9], s[2:3], v[4:5] op_sel_hi:[1,0,1]
	v_pk_fma_f32 v[4:5], v[54:55], s[0:1], v[26:27] op_sel:[1,0,0] op_sel_hi:[0,0,1] neg_lo:[1,0,0] neg_hi:[1,0,0]
	v_pk_fma_f32 v[8:9], v[54:55], s[0:1], v[26:27] op_sel:[1,0,0] op_sel_hi:[0,0,1]
	v_pk_fma_f32 v[4:5], v[18:19], s[10:11], v[4:5] op_sel:[1,0,0] op_sel_hi:[0,0,1]
	v_pk_fma_f32 v[8:9], v[18:19], s[10:11], v[8:9] op_sel:[1,0,0] op_sel_hi:[0,0,1] neg_lo:[1,0,0] neg_hi:[1,0,0]
	v_mov_b32_e32 v10, v4
	v_mov_b32_e32 v11, v9
	v_pk_fma_f32 v[54:55], v[56:57], s[2:3], v[10:11] op_sel_hi:[1,0,1]
	v_mov_b32_e32 v10, 3
	v_mul_u32_u24_e32 v3, 0x190, v48
	v_lshlrev_b32_sdwa v4, v10, v58 dst_sel:DWORD dst_unused:UNUSED_PAD src0_sel:DWORD src1_sel:BYTE_0
	v_mov_b32_e32 v9, v5
	v_add3_u32 v3, 0, v3, v4
	v_mov_b32_e32 v4, v45
	v_mov_b32_e32 v5, v44
	v_pk_fma_f32 v[40:41], v[56:57], s[2:3], v[8:9] op_sel_hi:[1,0,1]
	s_barrier
	ds_write2_b64 v3, v[0:1], v[4:5] offset1:10
	v_mov_b32_e32 v4, v42
	v_mov_b32_e32 v5, v6
	;; [unrolled: 1-line block ×4, first 2 shown]
	ds_write2_b64 v3, v[4:5], v[8:9] offset0:20 offset1:30
	v_mov_b32_e32 v4, v50
	v_mov_b32_e32 v5, v14
	ds_write_b64 v3, v[4:5] offset:320
	v_mul_u32_u24_e32 v3, 0x190, v59
	v_lshlrev_b32_sdwa v4, v10, v60 dst_sel:DWORD dst_unused:UNUSED_PAD src0_sel:DWORD src1_sel:BYTE_0
	v_add3_u32 v3, 0, v3, v4
	v_mov_b32_e32 v4, v51
	v_mov_b32_e32 v5, v15
	;; [unrolled: 1-line block ×4, first 2 shown]
	ds_write2_b64 v3, v[4:5], v[8:9] offset1:10
	v_mov_b32_e32 v4, v55
	v_mov_b32_e32 v5, v54
	;; [unrolled: 1-line block ×4, first 2 shown]
	ds_write2_b64 v3, v[4:5], v[8:9] offset0:20 offset1:30
	v_mov_b32_e32 v4, v13
	v_mov_b32_e32 v5, v12
	v_cmp_gt_u32_e64 s[0:1], 50, v49
	ds_write_b64 v3, v[4:5] offset:320
	s_waitcnt lgkmcnt(0)
	s_barrier
	s_waitcnt lgkmcnt(0)
                                        ; implicit-def: $vgpr56
                                        ; implicit-def: $vgpr22
                                        ; implicit-def: $vgpr18
                                        ; implicit-def: $vgpr10
	s_and_saveexec_b64 s[2:3], s[0:1]
	s_cbranch_execz .LBB0_15
; %bb.14:
	v_mul_i32_i24_e32 v0, 0xffffffb8, v49
	v_add_u32_e32 v32, v2, v0
	v_add_u32_e32 v8, 0x800, v32
	ds_read2_b64 v[0:3], v32 offset1:50
	ds_read2_b64 v[4:7], v32 offset0:100 offset1:150
	ds_read2_b64 v[12:15], v32 offset0:200 offset1:250
	;; [unrolled: 1-line block ×4, first 2 shown]
	v_add_u32_e32 v8, 0xc00, v32
	v_add_u32_e32 v20, 0x1000, v32
	ds_read2_b64 v[8:11], v8 offset0:116 offset1:166
	ds_read2_b64 v[16:19], v20 offset0:88 offset1:138
	;; [unrolled: 1-line block ×3, first 2 shown]
	ds_read_b64 v[56:57], v32 offset:6400
	s_waitcnt lgkmcnt(8)
	v_mov_b32_e32 v44, v3
	v_mov_b32_e32 v45, v2
	s_waitcnt lgkmcnt(7)
	v_mov_b32_e32 v42, v4
	v_mov_b32_e32 v43, v6
	v_mov_b32_e32 v6, v5
	s_waitcnt lgkmcnt(6)
	v_mov_b32_e32 v50, v12
	;; [unrolled: 4-line block ×3, first 2 shown]
	v_mov_b32_e32 v53, v24
	v_mov_b32_e32 v54, v27
	;; [unrolled: 1-line block ×3, first 2 shown]
	s_waitcnt lgkmcnt(4)
	v_mov_b32_e32 v41, v28
	v_mov_b32_e32 v40, v29
	;; [unrolled: 1-line block ×4, first 2 shown]
.LBB0_15:
	s_or_b64 exec, exec, s[2:3]
	v_cmp_gt_u32_e64 s[2:3], 50, v49
	s_and_b64 s[2:3], vcc, s[2:3]
	s_and_saveexec_b64 s[10:11], s[2:3]
	s_cbranch_execz .LBB0_17
; %bb.16:
	v_lshlrev_b32_e32 v2, 4, v49
	v_add_u32_e32 v3, 0xfffffce0, v2
	v_cndmask_b32_e64 v2, v3, v2, s[0:1]
	v_mov_b32_e32 v3, 0
	v_lshl_add_u64 v[46:47], v[2:3], 3, s[8:9]
	global_load_dwordx4 v[28:31], v[46:47], off offset:320
	global_load_dwordx4 v[32:35], v[46:47], off offset:336
	;; [unrolled: 1-line block ×5, first 2 shown]
	v_mul_lo_u32 v48, s5, v38
	v_mul_lo_u32 v67, s4, v39
	v_mad_u64_u32 v[38:39], s[0:1], s4, v38, 0
	v_mad_u64_u32 v[72:73], s[0:1], s16, v49, 0
	global_load_dwordx4 v[62:65], v[46:47], off offset:416
	v_add3_u32 v39, v39, v67, v48
	v_mov_b32_e32 v48, v73
	v_mad_u64_u32 v[74:75], s[0:1], s17, v49, v[48:49]
	v_mov_b32_e32 v73, v74
	global_load_dwordx4 v[74:77], v[46:47], off offset:400
	global_load_dwordx4 v[78:81], v[46:47], off offset:384
	v_lshl_add_u64 v[38:39], v[38:39], 3, s[6:7]
	v_lshl_add_u64 v[98:99], v[36:37], 3, v[38:39]
	s_waitcnt lgkmcnt(0)
	v_mov_b32_e32 v84, v57
	v_mov_b32_e32 v86, v23
	;; [unrolled: 1-line block ×6, first 2 shown]
	v_lshl_add_u64 v[72:73], v[72:73], 3, v[98:99]
	s_mov_b32 s26, 0x3f6eb680
	s_mov_b32 s27, 0xbeb8f4ab
	;; [unrolled: 1-line block ×52, first 2 shown]
	s_waitcnt vmcnt(7)
	v_pk_mul_f32 v[36:37], v[44:45], v[28:29]
	v_mov_b32_e32 v88, v29
	s_waitcnt vmcnt(5)
	v_pk_mul_f32 v[100:101], v[52:53], v[26:27]
	s_waitcnt vmcnt(4)
	v_pk_mul_f32 v[102:103], v[54:55], v[2:3]
	v_mul_f32_e32 v46, v6, v31
	v_mov_b32_e32 v92, v31
	v_mov_b32_e32 v93, v33
	v_mul_f32_e32 v48, v7, v33
	v_mov_b32_e32 v96, v35
	v_mov_b32_e32 v97, v25
	;; [unrolled: 3-line block ×3, first 2 shown]
	v_mov_b32_e32 v104, v37
	v_mov_b32_e32 v90, v30
	;; [unrolled: 1-line block ×3, first 2 shown]
	v_mul_f32_e32 v38, v14, v35
	v_mov_b32_e32 v95, v24
	s_waitcnt vmcnt(3)
	v_pk_mul_f32 v[84:85], v[84:85], v[60:61] op_sel_hi:[0,1]
	v_pk_mul_f32 v[86:87], v[86:87], v[58:59] op_sel_hi:[0,1]
	v_pk_mul_f32 v[88:89], v[44:45], v[88:89]
	v_fmac_f32_e32 v46, v42, v30
	v_pk_mul_f32 v[92:93], v[42:43], v[92:93]
	v_fmac_f32_e32 v48, v43, v32
	;; [unrolled: 2-line block ×3, first 2 shown]
	v_mov_b32_e32 v24, v101
	v_pk_mul_f32 v[42:43], v[52:53], v[100:101]
	v_mov_b32_e32 v96, v103
	v_pk_mul_f32 v[100:101], v[54:55], v[102:103]
	v_pk_fma_f32 v[104:105], v[44:45], v[28:29], v[104:105] neg_lo:[0,0,1] neg_hi:[0,0,1]
	v_mov_b32_e32 v94, v34
	v_fmac_f32_e32 v38, v50, v34
	v_pk_fma_f32 v[102:103], v[56:57], v[60:61], v[84:85] op_sel:[0,0,1] op_sel_hi:[0,1,0]
	v_pk_fma_f32 v[106:107], v[56:57], v[60:61], v[84:85] op_sel:[0,0,1] op_sel_hi:[0,1,0] neg_lo:[1,0,0] neg_hi:[1,0,0]
	v_pk_fma_f32 v[30:31], v[22:23], v[58:59], v[86:87] op_sel:[0,0,1] op_sel_hi:[0,1,0]
	v_pk_fma_f32 v[50:51], v[22:23], v[58:59], v[86:87] op_sel:[0,0,1] op_sel_hi:[0,1,0] neg_lo:[1,0,0] neg_hi:[1,0,0]
	v_pk_fma_f32 v[22:23], v[66:67], v[28:29], v[88:89]
	v_pk_fma_f32 v[28:29], v[6:7], v[90:91], v[92:93] neg_lo:[0,0,1] neg_hi:[0,0,1]
	v_pk_fma_f32 v[56:57], v[68:69], v[26:27], v[42:43]
	v_pk_fma_f32 v[68:69], v[54:55], v[2:3], v[96:97] neg_lo:[0,0,1] neg_hi:[0,0,1]
	v_pk_fma_f32 v[60:61], v[70:71], v[2:3], v[100:101]
	v_pk_add_f32 v[2:3], v[82:83], v[104:105]
	v_pk_fma_f32 v[32:33], v[14:15], v[94:95], v[32:33] neg_lo:[0,0,1] neg_hi:[0,0,1]
	v_pk_fma_f32 v[34:35], v[52:53], v[26:27], v[24:25] neg_lo:[0,0,1] neg_hi:[0,0,1]
	v_mov_b32_e32 v14, v29
	v_mov_b32_e32 v15, v104
	v_pk_add_f32 v[24:25], v[2:3], v[28:29]
	v_add_f32_e32 v26, v0, v22
	v_pk_add_f32 v[2:3], v[106:107], v[14:15]
	v_pk_add_f32 v[14:15], v[24:25], v[14:15]
	v_add_f32_e32 v26, v26, v46
	v_pk_add_f32 v[14:15], v[14:15], v[32:33]
	v_add_f32_e32 v2, v26, v48
	v_mov_b32_e32 v15, v14
	v_add_f32_e32 v2, v2, v38
	v_pk_add_f32 v[26:27], v[14:15], v[32:33]
	v_mov_b32_e32 v14, v30
	v_add_f32_e32 v26, v2, v36
	v_mov_b32_e32 v2, v21
	s_waitcnt vmcnt(2)
	v_pk_mul_f32 v[24:25], v[2:3], v[64:65] op_sel_hi:[0,1]
	v_mov_b32_e32 v2, v19
	v_pk_fma_f32 v[54:55], v[20:21], v[64:65], v[24:25] op_sel:[0,0,1] op_sel_hi:[0,1,0]
	v_pk_fma_f32 v[58:59], v[20:21], v[64:65], v[24:25] op_sel:[0,0,1] op_sel_hi:[0,1,0] neg_lo:[1,0,0] neg_hi:[1,0,0]
	v_pk_mul_f32 v[24:25], v[2:3], v[62:63] op_sel_hi:[0,1]
	v_mov_b32_e32 v2, v17
	v_pk_fma_f32 v[52:53], v[18:19], v[62:63], v[24:25] op_sel:[0,0,1] op_sel_hi:[0,1,0]
	v_pk_fma_f32 v[62:63], v[18:19], v[62:63], v[24:25] op_sel:[0,0,1] op_sel_hi:[0,1,0] neg_lo:[1,0,0] neg_hi:[1,0,0]
	s_waitcnt vmcnt(1)
	v_pk_mul_f32 v[24:25], v[2:3], v[76:77] op_sel_hi:[0,1]
	v_mov_b32_e32 v2, v11
	v_pk_fma_f32 v[66:67], v[16:17], v[76:77], v[24:25] op_sel:[0,0,1] op_sel_hi:[0,1,0]
	v_pk_fma_f32 v[64:65], v[16:17], v[76:77], v[24:25] op_sel:[0,0,1] op_sel_hi:[0,1,0] neg_lo:[1,0,0] neg_hi:[1,0,0]
	v_pk_mul_f32 v[24:25], v[2:3], v[74:75] op_sel_hi:[0,1]
	v_mov_b32_e32 v2, v9
	v_pk_fma_f32 v[70:71], v[10:11], v[74:75], v[24:25] op_sel:[0,0,1] op_sel_hi:[0,1,0]
	v_pk_fma_f32 v[88:89], v[10:11], v[74:75], v[24:25] op_sel:[0,0,1] op_sel_hi:[0,1,0] neg_lo:[1,0,0] neg_hi:[1,0,0]
	s_waitcnt vmcnt(0)
	v_pk_mul_f32 v[24:25], v[2:3], v[80:81] op_sel_hi:[0,1]
	v_mov_b32_e32 v2, v41
	v_pk_fma_f32 v[86:87], v[8:9], v[80:81], v[24:25] op_sel:[0,0,1] op_sel_hi:[0,1,0]
	v_pk_fma_f32 v[92:93], v[8:9], v[80:81], v[24:25] op_sel:[0,0,1] op_sel_hi:[0,1,0] neg_lo:[1,0,0] neg_hi:[1,0,0]
	v_mov_b32_e32 v24, v5
	v_mov_b32_e32 v25, v4
	v_pk_mul_f32 v[4:5], v[2:3], v[4:5] op_sel_hi:[0,1]
	v_pk_fma_f32 v[84:85], v[40:41], v[24:25], v[4:5] op_sel_hi:[0,1,1]
	v_pk_fma_f32 v[90:91], v[40:41], v[24:25], v[4:5] op_sel_hi:[0,1,1] neg_lo:[0,0,1] neg_hi:[0,0,1]
	v_mov_b32_e32 v40, v56
	v_mov_b32_e32 v41, v34
	;; [unrolled: 1-line block ×3, first 2 shown]
	v_pk_mul_f32 v[12:13], v[12:13], v[78:79] op_sel_hi:[0,1]
	v_pk_add_f32 v[26:27], v[26:27], v[40:41]
	v_mov_b32_e32 v40, v60
	v_mov_b32_e32 v41, v68
	;; [unrolled: 1-line block ×4, first 2 shown]
	v_pk_fma_f32 v[94:95], v[2:3], v[78:79], v[12:13] op_sel:[0,0,1] op_sel_hi:[0,1,0]
	v_pk_fma_f32 v[96:97], v[2:3], v[78:79], v[12:13] op_sel:[0,0,1] op_sel_hi:[0,1,0] neg_lo:[1,0,0] neg_hi:[1,0,0]
	v_pk_add_f32 v[26:27], v[26:27], v[40:41]
	v_mov_b32_e32 v12, v94
	v_mov_b32_e32 v13, v97
	v_pk_add_f32 v[4:5], v[26:27], v[4:5]
	v_mov_b32_e32 v8, v86
	v_mov_b32_e32 v9, v93
	;; [unrolled: 3-line block ×6, first 2 shown]
	v_pk_add_f32 v[4:5], v[18:19], v[4:5]
	v_mov_b32_e32 v15, v51
	v_pk_add_f32 v[4:5], v[20:21], v[4:5]
	v_mov_b32_e32 v6, v102
	v_mov_b32_e32 v7, v107
	v_pk_add_f32 v[4:5], v[14:15], v[4:5]
	v_mov_b32_e32 v2, v107
	v_pk_add_f32 v[4:5], v[6:7], v[4:5]
	v_add_u32_e32 v6, 50, v49
	global_store_dwordx2 v[72:73], v[4:5], off
	v_mad_u64_u32 v[4:5], s[0:1], s16, v6, 0
	v_pk_add_f32 v[24:25], v[104:105], v[2:3] neg_lo:[0,1] neg_hi:[0,1]
	v_mov_b32_e32 v2, v5
	v_mad_u64_u32 v[6:7], s[0:1], s17, v6, v[2:3]
	v_mov_b32_e32 v5, v6
	v_add_u32_e32 v6, 0x64, v49
	v_lshl_add_u64 v[74:75], v[4:5], 3, v[98:99]
	v_mad_u64_u32 v[4:5], s[0:1], s16, v6, 0
	v_mov_b32_e32 v2, v5
	v_mad_u64_u32 v[6:7], s[0:1], s17, v6, v[2:3]
	v_mov_b32_e32 v5, v6
	v_add_u32_e32 v6, 0x96, v49
	v_lshl_add_u64 v[78:79], v[4:5], 3, v[98:99]
	v_mad_u64_u32 v[4:5], s[0:1], s16, v6, 0
	;; [unrolled: 6-line block ×7, first 2 shown]
	v_mov_b32_e32 v2, v5
	v_mad_u64_u32 v[6:7], s[0:1], s17, v6, v[2:3]
	v_add_u32_e32 v8, 0x1c2, v49
	v_mov_b32_e32 v5, v6
	v_mad_u64_u32 v[6:7], s[0:1], s16, v8, 0
	v_mov_b32_e32 v2, v7
	v_mad_u64_u32 v[8:9], s[0:1], s17, v8, v[2:3]
	v_add_u32_e32 v10, 0x1f4, v49
	v_mov_b32_e32 v7, v8
	v_mad_u64_u32 v[8:9], s[0:1], s16, v10, 0
	;; [unrolled: 5-line block ×7, first 2 shown]
	v_pk_add_f32 v[44:45], v[22:23], v[102:103] neg_lo:[0,1] neg_hi:[0,1]
	v_pk_add_f32 v[22:23], v[102:103], v[22:23]
	v_mov_b32_e32 v2, v19
	v_mad_u64_u32 v[20:21], s[0:1], s17, v20, v[2:3]
	v_add_u32_e32 v23, 0x320, v49
	v_mov_b32_e32 v19, v20
	v_mad_u64_u32 v[20:21], s[0:1], s16, v23, 0
	v_mov_b32_e32 v2, v21
	v_mad_u64_u32 v[26:27], s[0:1], s17, v23, v[2:3]
	v_mov_b32_e32 v21, v26
	v_pk_add_f32 v[42:43], v[28:29], v[50:51] op_sel:[0,1] neg_lo:[0,1] neg_hi:[0,1]
	v_pk_add_f32 v[26:27], v[28:29], v[50:51] op_sel_hi:[0,1]
	v_pk_add_f32 v[50:51], v[46:47], v[30:31]
	v_pk_add_f32 v[30:31], v[46:47], v[30:31] neg_lo:[0,1] neg_hi:[0,1]
	v_pk_add_f32 v[46:47], v[28:29], v[58:59] neg_lo:[0,1] neg_hi:[0,1]
	v_mov_b32_e32 v51, v30
	v_pk_add_f32 v[28:29], v[28:29], v[58:59]
	v_pk_add_f32 v[58:59], v[48:49], v[54:55]
	v_pk_add_f32 v[30:31], v[48:49], v[54:55] neg_lo:[0,1] neg_hi:[0,1]
	v_pk_add_f32 v[48:49], v[32:33], v[62:63] op_sel:[0,1] neg_lo:[0,1] neg_hi:[0,1]
	v_mov_b32_e32 v59, v30
	v_pk_add_f32 v[30:31], v[32:33], v[62:63] op_sel_hi:[0,1]
	v_pk_add_f32 v[62:63], v[38:39], v[52:53]
	v_pk_add_f32 v[38:39], v[38:39], v[52:53] neg_lo:[0,1] neg_hi:[0,1]
	v_pk_add_f32 v[52:53], v[32:33], v[64:65] neg_lo:[0,1] neg_hi:[0,1]
	v_pk_add_f32 v[32:33], v[32:33], v[64:65]
	v_pk_add_f32 v[64:65], v[36:37], v[66:67]
	v_pk_add_f32 v[36:37], v[36:37], v[66:67] neg_lo:[0,1] neg_hi:[0,1]
	v_pk_add_f32 v[66:67], v[56:57], v[70:71]
	v_mov_b32_e32 v65, v36
	v_pk_add_f32 v[36:37], v[56:57], v[70:71] neg_lo:[0,1] neg_hi:[0,1]
	v_mov_b32_e32 v23, v44
	v_mov_b32_e32 v63, v38
	;; [unrolled: 1-line block ×3, first 2 shown]
	v_pk_add_f32 v[56:57], v[68:69], v[92:93] op_sel:[0,1] neg_lo:[0,1] neg_hi:[0,1]
	v_pk_add_f32 v[36:37], v[68:69], v[92:93] op_sel_hi:[0,1]
	v_pk_add_f32 v[68:69], v[60:61], v[86:87]
	v_pk_add_f32 v[38:39], v[60:61], v[86:87] neg_lo:[0,1] neg_hi:[0,1]
	v_pk_mul_f32 v[86:87], v[22:23], s[26:27]
	v_mov_b32_e32 v2, v24
	v_mov_b32_e32 v26, v42
	v_pk_add_f32 v[54:55], v[34:35], v[88:89] op_sel:[0,1] neg_lo:[0,1] neg_hi:[0,1]
	v_pk_add_f32 v[34:35], v[34:35], v[88:89] op_sel_hi:[0,1]
	v_pk_mul_f32 v[88:89], v[50:51], s[38:39]
	v_pk_fma_f32 v[44:45], v[24:25], s[20:21], v[86:87] neg_lo:[1,0,0] neg_hi:[1,0,0]
	v_pk_fma_f32 v[100:101], v[2:3], s[20:21], v[86:87]
	v_pk_fma_f32 v[102:103], v[42:43], s[36:37], v[88:89] neg_lo:[1,0,0] neg_hi:[1,0,0]
	v_mov_b32_e32 v45, v101
	v_pk_fma_f32 v[104:105], v[26:27], s[36:37], v[88:89]
	v_mov_b32_e32 v28, v47
	v_mov_b32_e32 v69, v38
	v_pk_add_f32 v[60:61], v[90:91], v[96:97] neg_lo:[0,1] neg_hi:[0,1]
	v_pk_add_f32 v[38:39], v[90:91], v[96:97]
	v_pk_mul_f32 v[90:91], v[58:59], s[46:47]
	v_pk_add_f32 v[44:45], v[0:1], v[44:45]
	v_mov_b32_e32 v103, v105
	v_pk_add_f32 v[44:45], v[44:45], v[102:103]
	v_pk_fma_f32 v[102:103], v[46:47], s[42:43], v[90:91] op_sel:[1,0,0] neg_lo:[1,0,0] neg_hi:[1,0,0]
	v_pk_fma_f32 v[106:107], v[28:29], s[42:43], v[90:91]
	v_mov_b32_e32 v30, v48
	v_pk_mul_f32 v[92:93], v[62:63], s[30:31]
	v_mov_b32_e32 v103, v107
	v_pk_add_f32 v[44:45], v[44:45], v[102:103]
	v_pk_fma_f32 v[102:103], v[48:49], s[22:23], v[92:93] neg_lo:[1,0,0] neg_hi:[1,0,0]
	v_pk_fma_f32 v[108:109], v[30:31], s[22:23], v[92:93]
	v_mov_b32_e32 v32, v53
	v_pk_add_f32 v[70:71], v[84:85], v[94:95]
	v_pk_add_f32 v[84:85], v[84:85], v[94:95] neg_lo:[0,1] neg_hi:[0,1]
	v_pk_mul_f32 v[94:95], v[64:65], s[8:9]
	s_mov_b32 s0, s9
	s_mov_b32 s1, s8
	v_mov_b32_e32 v103, v109
	v_pk_fma_f32 v[86:87], v[2:3], s[20:21], v[86:87] neg_lo:[0,0,1] neg_hi:[0,0,1]
	v_pk_add_f32 v[44:45], v[44:45], v[102:103]
	v_pk_fma_f32 v[102:103], v[52:53], s[0:1], v[94:95] op_sel:[1,0,0] neg_lo:[1,0,0] neg_hi:[1,0,0]
	v_pk_fma_f32 v[110:111], v[32:33], s[0:1], v[94:95]
	v_mov_b32_e32 v101, v87
	v_pk_fma_f32 v[88:89], v[26:27], s[36:37], v[88:89] neg_lo:[0,0,1] neg_hi:[0,0,1]
	v_mov_b32_e32 v34, v54
	v_pk_mul_f32 v[96:97], v[66:67], s[10:11]
	v_mov_b32_e32 v103, v111
	v_pk_add_f32 v[86:87], v[0:1], v[100:101]
	v_mov_b32_e32 v105, v89
	v_pk_fma_f32 v[88:89], v[28:29], s[42:43], v[90:91] neg_lo:[0,0,1] neg_hi:[0,0,1]
	v_pk_add_f32 v[44:45], v[44:45], v[102:103]
	v_pk_fma_f32 v[102:103], v[54:55], s[2:3], v[96:97] neg_lo:[1,0,0] neg_hi:[1,0,0]
	v_pk_fma_f32 v[112:113], v[34:35], s[2:3], v[96:97]
	v_pk_add_f32 v[86:87], v[86:87], v[104:105]
	v_mov_b32_e32 v107, v89
	v_pk_fma_f32 v[88:89], v[30:31], s[22:23], v[92:93] neg_lo:[0,0,1] neg_hi:[0,0,1]
	v_lshl_add_u64 v[4:5], v[4:5], 3, v[98:99]
	v_lshl_add_u64 v[6:7], v[6:7], 3, v[98:99]
	;; [unrolled: 1-line block ×9, first 2 shown]
	v_mov_b32_e32 v36, v56
	v_pk_mul_f32 v[98:99], v[68:69], s[12:13]
	v_mov_b32_e32 v103, v113
	v_pk_add_f32 v[86:87], v[86:87], v[106:107]
	v_mov_b32_e32 v109, v89
	v_pk_fma_f32 v[88:89], v[32:33], s[0:1], v[94:95] neg_lo:[0,0,1] neg_hi:[0,0,1]
	v_mov_b32_e32 v71, v84
	v_pk_add_f32 v[44:45], v[44:45], v[102:103]
	v_pk_fma_f32 v[102:103], v[56:57], s[4:5], v[98:99] neg_lo:[1,0,0] neg_hi:[1,0,0]
	v_pk_fma_f32 v[114:115], v[36:37], s[4:5], v[98:99]
	v_pk_add_f32 v[86:87], v[86:87], v[108:109]
	v_mov_b32_e32 v111, v89
	v_pk_fma_f32 v[88:89], v[34:35], s[2:3], v[96:97] neg_lo:[0,0,1] neg_hi:[0,0,1]
	v_mov_b32_e32 v38, v61
	v_pk_mul_f32 v[84:85], v[70:71], s[14:15]
	v_mov_b32_e32 v103, v115
	v_pk_add_f32 v[86:87], v[86:87], v[110:111]
	v_mov_b32_e32 v113, v89
	v_pk_fma_f32 v[88:89], v[36:37], s[4:5], v[98:99] neg_lo:[0,0,1] neg_hi:[0,0,1]
	v_pk_add_f32 v[44:45], v[44:45], v[102:103]
	v_pk_fma_f32 v[102:103], v[60:61], s[6:7], v[84:85] op_sel:[1,0,0] neg_lo:[1,0,0] neg_hi:[1,0,0]
	v_pk_fma_f32 v[116:117], v[38:39], s[6:7], v[84:85]
	v_pk_add_f32 v[86:87], v[86:87], v[112:113]
	v_mov_b32_e32 v115, v89
	v_pk_fma_f32 v[84:85], v[38:39], s[6:7], v[84:85] neg_lo:[0,0,1] neg_hi:[0,0,1]
	v_mov_b32_e32 v103, v117
	v_pk_add_f32 v[86:87], v[86:87], v[114:115]
	v_mov_b32_e32 v117, v85
	v_pk_add_f32 v[84:85], v[86:87], v[116:117]
	v_pk_mul_f32 v[86:87], v[22:23], s[38:39]
	global_store_dwordx2 v[74:75], v[84:85], off
	v_pk_fma_f32 v[74:75], v[24:25], s[36:37], v[86:87] neg_lo:[1,0,0] neg_hi:[1,0,0]
	v_pk_fma_f32 v[88:89], v[2:3], s[36:37], v[86:87]
	v_pk_mul_f32 v[90:91], v[50:51], s[30:31]
	v_pk_add_f32 v[44:45], v[44:45], v[102:103]
	v_mov_b32_e32 v75, v89
	v_pk_fma_f32 v[102:103], v[42:43], s[22:23], v[90:91] neg_lo:[1,0,0] neg_hi:[1,0,0]
	v_pk_fma_f32 v[104:105], v[26:27], s[22:23], v[90:91]
	v_pk_add_f32 v[74:75], v[0:1], v[74:75]
	v_pk_mul_f32 v[92:93], v[58:59], s[10:11]
	v_mov_b32_e32 v103, v105
	v_pk_add_f32 v[74:75], v[74:75], v[102:103]
	v_pk_fma_f32 v[102:103], v[46:47], s[2:3], v[92:93] op_sel:[1,0,0] neg_lo:[1,0,0] neg_hi:[1,0,0]
	v_pk_fma_f32 v[106:107], v[28:29], s[2:3], v[92:93]
	v_pk_mul_f32 v[94:95], v[62:63], s[14:15]
	v_mov_b32_e32 v103, v107
	v_pk_add_f32 v[74:75], v[74:75], v[102:103]
	v_pk_fma_f32 v[102:103], v[48:49], s[6:7], v[94:95] neg_lo:[1,0,0] neg_hi:[1,0,0]
	v_pk_fma_f32 v[108:109], v[30:31], s[6:7], v[94:95]
	v_pk_fma_f32 v[86:87], v[2:3], s[36:37], v[86:87] neg_lo:[0,0,1] neg_hi:[0,0,1]
	v_pk_mul_f32 v[96:97], v[64:65], s[54:55]
	v_mov_b32_e32 v103, v109
	v_mov_b32_e32 v89, v87
	v_pk_add_f32 v[74:75], v[74:75], v[102:103]
	v_pk_fma_f32 v[102:103], v[52:53], s[50:51], v[96:97] op_sel:[1,0,0] neg_lo:[1,0,0] neg_hi:[1,0,0]
	v_pk_fma_f32 v[110:111], v[32:33], s[50:51], v[96:97]
	v_pk_add_f32 v[86:87], v[0:1], v[88:89]
	v_pk_fma_f32 v[88:89], v[26:27], s[22:23], v[90:91] neg_lo:[0,0,1] neg_hi:[0,0,1]
	v_pk_mul_f32 v[98:99], v[66:67], s[48:49]
	v_mov_b32_e32 v103, v111
	v_mov_b32_e32 v105, v89
	v_pk_fma_f32 v[88:89], v[28:29], s[2:3], v[92:93] neg_lo:[0,0,1] neg_hi:[0,0,1]
	v_pk_add_f32 v[74:75], v[74:75], v[102:103]
	v_pk_fma_f32 v[102:103], v[54:55], s[44:45], v[98:99] neg_lo:[1,0,0] neg_hi:[1,0,0]
	v_pk_fma_f32 v[112:113], v[34:35], s[44:45], v[98:99]
	v_pk_add_f32 v[86:87], v[86:87], v[104:105]
	v_mov_b32_e32 v107, v89
	v_pk_fma_f32 v[88:89], v[30:31], s[6:7], v[94:95] neg_lo:[0,0,1] neg_hi:[0,0,1]
	v_pk_mul_f32 v[100:101], v[68:69], s[24:25]
	s_mov_b32 s16, s25
	s_mov_b32 s17, s46
	v_mov_b32_e32 v103, v113
	v_pk_add_f32 v[86:87], v[86:87], v[106:107]
	v_mov_b32_e32 v109, v89
	v_pk_fma_f32 v[88:89], v[32:33], s[50:51], v[96:97] neg_lo:[0,0,1] neg_hi:[0,0,1]
	v_pk_add_f32 v[74:75], v[74:75], v[102:103]
	v_pk_fma_f32 v[102:103], v[56:57], s[16:17], v[100:101] neg_lo:[1,0,0] neg_hi:[1,0,0]
	v_pk_fma_f32 v[114:115], v[36:37], s[16:17], v[100:101]
	v_pk_add_f32 v[86:87], v[86:87], v[108:109]
	v_mov_b32_e32 v111, v89
	v_pk_fma_f32 v[88:89], v[34:35], s[44:45], v[98:99] neg_lo:[0,0,1] neg_hi:[0,0,1]
	v_pk_mul_f32 v[84:85], v[70:71], s[28:29]
	v_mov_b32_e32 v103, v115
	v_pk_add_f32 v[86:87], v[86:87], v[110:111]
	v_mov_b32_e32 v113, v89
	v_pk_fma_f32 v[88:89], v[36:37], s[16:17], v[100:101] neg_lo:[0,0,1] neg_hi:[0,0,1]
	v_pk_add_f32 v[74:75], v[74:75], v[102:103]
	v_pk_fma_f32 v[102:103], v[60:61], s[18:19], v[84:85] op_sel:[1,0,0] neg_lo:[1,0,0] neg_hi:[1,0,0]
	v_pk_fma_f32 v[116:117], v[38:39], s[18:19], v[84:85]
	v_pk_add_f32 v[86:87], v[86:87], v[112:113]
	v_mov_b32_e32 v115, v89
	v_pk_fma_f32 v[84:85], v[38:39], s[18:19], v[84:85] neg_lo:[0,0,1] neg_hi:[0,0,1]
	v_mov_b32_e32 v103, v117
	v_pk_add_f32 v[86:87], v[86:87], v[114:115]
	v_mov_b32_e32 v117, v85
	v_pk_add_f32 v[84:85], v[86:87], v[116:117]
	global_store_dwordx2 v[78:79], v[84:85], off
	v_pk_mul_f32 v[84:85], v[22:23], s[46:47]
	v_pk_mul_f32 v[88:89], v[50:51], s[10:11]
	v_pk_fma_f32 v[78:79], v[24:25], s[42:43], v[84:85] neg_lo:[1,0,0] neg_hi:[1,0,0]
	v_pk_fma_f32 v[86:87], v[2:3], s[42:43], v[84:85]
	v_pk_add_f32 v[74:75], v[74:75], v[102:103]
	v_mov_b32_e32 v79, v87
	v_pk_fma_f32 v[102:103], v[42:43], s[2:3], v[88:89] neg_lo:[1,0,0] neg_hi:[1,0,0]
	v_pk_fma_f32 v[104:105], v[26:27], s[2:3], v[88:89]
	v_pk_add_f32 v[78:79], v[0:1], v[78:79]
	v_pk_mul_f32 v[90:91], v[58:59], s[34:35]
	v_mov_b32_e32 v103, v105
	v_pk_add_f32 v[78:79], v[78:79], v[102:103]
	v_pk_fma_f32 v[102:103], v[46:47], s[52:53], v[90:91] op_sel:[1,0,0] neg_lo:[1,0,0] neg_hi:[1,0,0]
	v_pk_fma_f32 v[106:107], v[28:29], s[52:53], v[90:91]
	v_pk_mul_f32 v[92:93], v[62:63], s[48:49]
	v_mov_b32_e32 v103, v107
	v_pk_add_f32 v[78:79], v[78:79], v[102:103]
	v_pk_fma_f32 v[102:103], v[48:49], s[44:45], v[92:93] neg_lo:[1,0,0] neg_hi:[1,0,0]
	v_pk_fma_f32 v[108:109], v[30:31], s[44:45], v[92:93]
	v_pk_fma_f32 v[84:85], v[2:3], s[42:43], v[84:85] neg_lo:[0,0,1] neg_hi:[0,0,1]
	v_pk_mul_f32 v[94:95], v[64:65], s[40:41]
	s_mov_b32 s34, s41
	s_mov_b32 s35, s38
	v_mov_b32_e32 v103, v109
	v_mov_b32_e32 v87, v85
	v_pk_add_f32 v[78:79], v[78:79], v[102:103]
	v_pk_fma_f32 v[102:103], v[52:53], s[34:35], v[94:95] op_sel:[1,0,0] neg_lo:[1,0,0] neg_hi:[1,0,0]
	v_pk_fma_f32 v[110:111], v[32:33], s[34:35], v[94:95]
	v_pk_add_f32 v[84:85], v[0:1], v[86:87]
	v_pk_fma_f32 v[86:87], v[26:27], s[2:3], v[88:89] neg_lo:[0,0,1] neg_hi:[0,0,1]
	v_pk_mul_f32 v[96:97], v[66:67], s[26:27]
	v_mov_b32_e32 v103, v111
	v_mov_b32_e32 v105, v87
	v_pk_fma_f32 v[86:87], v[28:29], s[52:53], v[90:91] neg_lo:[0,0,1] neg_hi:[0,0,1]
	v_pk_add_f32 v[78:79], v[78:79], v[102:103]
	v_pk_fma_f32 v[102:103], v[54:55], s[20:21], v[96:97] neg_lo:[1,0,0] neg_hi:[1,0,0]
	v_pk_fma_f32 v[112:113], v[34:35], s[20:21], v[96:97]
	v_pk_add_f32 v[84:85], v[84:85], v[104:105]
	v_mov_b32_e32 v107, v87
	v_pk_fma_f32 v[86:87], v[30:31], s[44:45], v[92:93] neg_lo:[0,0,1] neg_hi:[0,0,1]
	v_pk_mul_f32 v[98:99], v[68:69], s[30:31]
	v_mov_b32_e32 v103, v113
	v_pk_add_f32 v[84:85], v[84:85], v[106:107]
	v_mov_b32_e32 v109, v87
	v_pk_fma_f32 v[86:87], v[32:33], s[34:35], v[94:95] neg_lo:[0,0,1] neg_hi:[0,0,1]
	v_pk_add_f32 v[78:79], v[78:79], v[102:103]
	v_pk_fma_f32 v[102:103], v[56:57], s[22:23], v[98:99] neg_lo:[1,0,0] neg_hi:[1,0,0]
	v_pk_fma_f32 v[114:115], v[36:37], s[22:23], v[98:99]
	v_pk_add_f32 v[84:85], v[84:85], v[108:109]
	v_mov_b32_e32 v111, v87
	v_pk_fma_f32 v[86:87], v[34:35], s[20:21], v[96:97] neg_lo:[0,0,1] neg_hi:[0,0,1]
	v_pk_mul_f32 v[100:101], v[70:71], s[12:13]
	v_mov_b32_e32 v103, v115
	v_pk_add_f32 v[84:85], v[84:85], v[110:111]
	v_mov_b32_e32 v113, v87
	v_pk_fma_f32 v[86:87], v[36:37], s[22:23], v[98:99] neg_lo:[0,0,1] neg_hi:[0,0,1]
	v_pk_add_f32 v[78:79], v[78:79], v[102:103]
	v_pk_fma_f32 v[102:103], v[60:61], s[4:5], v[100:101] op_sel:[1,0,0] neg_lo:[1,0,0] neg_hi:[1,0,0]
	v_pk_fma_f32 v[116:117], v[38:39], s[4:5], v[100:101]
	v_pk_add_f32 v[84:85], v[84:85], v[112:113]
	v_mov_b32_e32 v115, v87
	v_pk_fma_f32 v[86:87], v[38:39], s[4:5], v[100:101] neg_lo:[0,0,1] neg_hi:[0,0,1]
	v_mov_b32_e32 v103, v117
	v_pk_add_f32 v[84:85], v[84:85], v[114:115]
	v_mov_b32_e32 v117, v87
	v_pk_add_f32 v[84:85], v[84:85], v[116:117]
	global_store_dwordx2 v[82:83], v[84:85], off
	v_pk_mul_f32 v[84:85], v[22:23], s[30:31]
	v_pk_mul_f32 v[88:89], v[50:51], s[14:15]
	v_pk_fma_f32 v[82:83], v[24:25], s[22:23], v[84:85] neg_lo:[1,0,0] neg_hi:[1,0,0]
	v_pk_fma_f32 v[86:87], v[2:3], s[22:23], v[84:85]
	v_pk_add_f32 v[78:79], v[78:79], v[102:103]
	v_mov_b32_e32 v83, v87
	v_pk_fma_f32 v[102:103], v[42:43], s[6:7], v[88:89] neg_lo:[1,0,0] neg_hi:[1,0,0]
	v_pk_fma_f32 v[104:105], v[26:27], s[6:7], v[88:89]
	v_pk_add_f32 v[82:83], v[0:1], v[82:83]
	v_pk_mul_f32 v[90:91], v[58:59], s[48:49]
	v_mov_b32_e32 v103, v105
	v_pk_add_f32 v[82:83], v[82:83], v[102:103]
	v_pk_fma_f32 v[102:103], v[46:47], s[44:45], v[90:91] op_sel:[1,0,0] neg_lo:[1,0,0] neg_hi:[1,0,0]
	v_pk_fma_f32 v[106:107], v[28:29], s[44:45], v[90:91]
	v_pk_mul_f32 v[92:93], v[62:63], s[28:29]
	v_mov_b32_e32 v103, v107
	v_pk_add_f32 v[82:83], v[82:83], v[102:103]
	v_pk_fma_f32 v[102:103], v[48:49], s[18:19], v[92:93] neg_lo:[1,0,0] neg_hi:[1,0,0]
	v_pk_fma_f32 v[108:109], v[30:31], s[18:19], v[92:93]
	v_pk_fma_f32 v[84:85], v[2:3], s[22:23], v[84:85] neg_lo:[0,0,1] neg_hi:[0,0,1]
	v_pk_mul_f32 v[94:95], v[64:65], s[46:47]
	v_mov_b32_e32 v103, v109
	v_mov_b32_e32 v87, v85
	v_pk_add_f32 v[82:83], v[82:83], v[102:103]
	v_pk_fma_f32 v[102:103], v[52:53], s[42:43], v[94:95] op_sel:[1,0,0] neg_lo:[1,0,0] neg_hi:[1,0,0]
	v_pk_fma_f32 v[110:111], v[32:33], s[42:43], v[94:95]
	v_pk_add_f32 v[84:85], v[0:1], v[86:87]
	v_pk_fma_f32 v[86:87], v[26:27], s[6:7], v[88:89] neg_lo:[0,0,1] neg_hi:[0,0,1]
	v_pk_mul_f32 v[96:97], v[66:67], s[12:13]
	v_mov_b32_e32 v103, v111
	v_mov_b32_e32 v105, v87
	v_pk_fma_f32 v[86:87], v[28:29], s[44:45], v[90:91] neg_lo:[0,0,1] neg_hi:[0,0,1]
	v_pk_add_f32 v[82:83], v[82:83], v[102:103]
	v_pk_fma_f32 v[102:103], v[54:55], s[4:5], v[96:97] neg_lo:[1,0,0] neg_hi:[1,0,0]
	v_pk_fma_f32 v[112:113], v[34:35], s[4:5], v[96:97]
	v_pk_add_f32 v[84:85], v[84:85], v[104:105]
	v_mov_b32_e32 v107, v87
	v_pk_fma_f32 v[86:87], v[30:31], s[18:19], v[92:93] neg_lo:[0,0,1] neg_hi:[0,0,1]
	v_pk_mul_f32 v[98:99], v[68:69], s[56:57]
	s_mov_b32 s52, s57
	s_mov_b32 s53, s10
	v_mov_b32_e32 v103, v113
	v_pk_add_f32 v[84:85], v[84:85], v[106:107]
	v_mov_b32_e32 v109, v87
	v_pk_fma_f32 v[86:87], v[32:33], s[42:43], v[94:95] neg_lo:[0,0,1] neg_hi:[0,0,1]
	v_pk_add_f32 v[82:83], v[82:83], v[102:103]
	v_pk_fma_f32 v[102:103], v[56:57], s[52:53], v[98:99] neg_lo:[1,0,0] neg_hi:[1,0,0]
	v_pk_fma_f32 v[114:115], v[36:37], s[52:53], v[98:99]
	v_pk_add_f32 v[84:85], v[84:85], v[108:109]
	v_mov_b32_e32 v111, v87
	v_pk_fma_f32 v[86:87], v[34:35], s[4:5], v[96:97] neg_lo:[0,0,1] neg_hi:[0,0,1]
	v_pk_mul_f32 v[100:101], v[70:71], s[40:41]
	v_mov_b32_e32 v103, v115
	v_pk_add_f32 v[84:85], v[84:85], v[110:111]
	v_mov_b32_e32 v113, v87
	v_pk_fma_f32 v[86:87], v[36:37], s[52:53], v[98:99] neg_lo:[0,0,1] neg_hi:[0,0,1]
	v_pk_add_f32 v[82:83], v[82:83], v[102:103]
	v_pk_fma_f32 v[102:103], v[60:61], s[34:35], v[100:101] op_sel:[1,0,0] neg_lo:[1,0,0] neg_hi:[1,0,0]
	v_pk_fma_f32 v[116:117], v[38:39], s[34:35], v[100:101]
	v_pk_add_f32 v[84:85], v[84:85], v[112:113]
	v_mov_b32_e32 v115, v87
	v_pk_fma_f32 v[86:87], v[38:39], s[34:35], v[100:101] neg_lo:[0,0,1] neg_hi:[0,0,1]
	v_mov_b32_e32 v103, v117
	v_pk_add_f32 v[84:85], v[84:85], v[114:115]
	v_mov_b32_e32 v117, v87
	v_pk_add_f32 v[84:85], v[84:85], v[116:117]
	global_store_dwordx2 v[80:81], v[84:85], off
	v_pk_mul_f32 v[84:85], v[22:23], s[8:9]
	v_pk_mul_f32 v[88:89], v[50:51], s[54:55]
	v_pk_fma_f32 v[80:81], v[24:25], s[0:1], v[84:85] neg_lo:[1,0,0] neg_hi:[1,0,0]
	v_pk_fma_f32 v[86:87], v[2:3], s[0:1], v[84:85]
	v_pk_add_f32 v[82:83], v[82:83], v[102:103]
	v_mov_b32_e32 v81, v87
	v_pk_fma_f32 v[102:103], v[42:43], s[50:51], v[88:89] neg_lo:[1,0,0] neg_hi:[1,0,0]
	v_pk_fma_f32 v[104:105], v[26:27], s[50:51], v[88:89]
	v_pk_add_f32 v[80:81], v[0:1], v[80:81]
	v_pk_mul_f32 v[90:91], v[58:59], s[40:41]
	v_mov_b32_e32 v103, v105
	v_pk_add_f32 v[80:81], v[80:81], v[102:103]
	v_pk_fma_f32 v[102:103], v[46:47], s[34:35], v[90:91] op_sel:[1,0,0] neg_lo:[1,0,0] neg_hi:[1,0,0]
	v_pk_fma_f32 v[106:107], v[28:29], s[34:35], v[90:91]
	v_pk_mul_f32 v[92:93], v[62:63], s[46:47]
	v_mov_b32_e32 v103, v107
	v_pk_add_f32 v[80:81], v[80:81], v[102:103]
	v_pk_fma_f32 v[102:103], v[48:49], s[42:43], v[92:93] neg_lo:[1,0,0] neg_hi:[1,0,0]
	v_pk_fma_f32 v[108:109], v[30:31], s[42:43], v[92:93]
	v_pk_fma_f32 v[84:85], v[2:3], s[0:1], v[84:85] neg_lo:[0,0,1] neg_hi:[0,0,1]
	v_pk_mul_f32 v[94:95], v[64:65], s[14:15]
	v_mov_b32_e32 v103, v109
	v_mov_b32_e32 v87, v85
	s_mov_b32 s55, 0x3f7ee86f
	s_mov_b32 s54, s30
	v_pk_add_f32 v[80:81], v[80:81], v[102:103]
	v_pk_fma_f32 v[102:103], v[52:53], s[6:7], v[94:95] op_sel:[1,0,0] neg_lo:[1,0,0] neg_hi:[1,0,0]
	v_pk_fma_f32 v[110:111], v[32:33], s[6:7], v[94:95]
	v_pk_add_f32 v[84:85], v[0:1], v[86:87]
	v_pk_fma_f32 v[86:87], v[26:27], s[50:51], v[88:89] neg_lo:[0,0,1] neg_hi:[0,0,1]
	v_pk_mul_f32 v[96:97], v[66:67], s[54:55]
	s_mov_b32 s46, s55
	s_mov_b32 s47, s30
	v_mov_b32_e32 v103, v111
	v_mov_b32_e32 v105, v87
	v_pk_fma_f32 v[86:87], v[28:29], s[34:35], v[90:91] neg_lo:[0,0,1] neg_hi:[0,0,1]
	v_pk_add_f32 v[80:81], v[80:81], v[102:103]
	v_pk_fma_f32 v[102:103], v[54:55], s[46:47], v[96:97] neg_lo:[1,0,0] neg_hi:[1,0,0]
	v_pk_fma_f32 v[112:113], v[34:35], s[46:47], v[96:97]
	v_pk_add_f32 v[84:85], v[84:85], v[104:105]
	v_mov_b32_e32 v107, v87
	v_pk_fma_f32 v[86:87], v[30:31], s[42:43], v[92:93] neg_lo:[0,0,1] neg_hi:[0,0,1]
	v_pk_mul_f32 v[98:99], v[68:69], s[26:27]
	v_mov_b32_e32 v103, v113
	v_pk_add_f32 v[84:85], v[84:85], v[106:107]
	v_mov_b32_e32 v109, v87
	v_pk_fma_f32 v[86:87], v[32:33], s[6:7], v[94:95] neg_lo:[0,0,1] neg_hi:[0,0,1]
	v_pk_add_f32 v[80:81], v[80:81], v[102:103]
	v_pk_fma_f32 v[102:103], v[56:57], s[20:21], v[98:99] neg_lo:[1,0,0] neg_hi:[1,0,0]
	v_pk_fma_f32 v[114:115], v[36:37], s[20:21], v[98:99]
	v_pk_add_f32 v[84:85], v[84:85], v[108:109]
	v_mov_b32_e32 v111, v87
	v_pk_fma_f32 v[86:87], v[34:35], s[46:47], v[96:97] neg_lo:[0,0,1] neg_hi:[0,0,1]
	v_pk_mul_f32 v[100:101], v[70:71], s[10:11]
	v_mov_b32_e32 v103, v115
	v_pk_add_f32 v[84:85], v[84:85], v[110:111]
	v_mov_b32_e32 v113, v87
	v_pk_fma_f32 v[86:87], v[36:37], s[20:21], v[98:99] neg_lo:[0,0,1] neg_hi:[0,0,1]
	v_pk_add_f32 v[80:81], v[80:81], v[102:103]
	v_pk_fma_f32 v[102:103], v[60:61], s[2:3], v[100:101] op_sel:[1,0,0] neg_lo:[1,0,0] neg_hi:[1,0,0]
	v_pk_fma_f32 v[116:117], v[38:39], s[2:3], v[100:101]
	v_pk_add_f32 v[84:85], v[84:85], v[112:113]
	v_mov_b32_e32 v115, v87
	v_pk_fma_f32 v[86:87], v[38:39], s[2:3], v[100:101] neg_lo:[0,0,1] neg_hi:[0,0,1]
	v_mov_b32_e32 v103, v117
	v_pk_add_f32 v[84:85], v[84:85], v[114:115]
	v_mov_b32_e32 v117, v87
	v_pk_add_f32 v[84:85], v[84:85], v[116:117]
	global_store_dwordx2 v[76:77], v[84:85], off
	v_pk_mul_f32 v[84:85], v[22:23], s[10:11]
	v_pk_mul_f32 v[88:89], v[50:51], s[48:49]
	v_pk_fma_f32 v[76:77], v[24:25], s[2:3], v[84:85] neg_lo:[1,0,0] neg_hi:[1,0,0]
	v_pk_fma_f32 v[86:87], v[2:3], s[2:3], v[84:85]
	v_pk_add_f32 v[80:81], v[80:81], v[102:103]
	v_mov_b32_e32 v77, v87
	v_pk_fma_f32 v[102:103], v[42:43], s[44:45], v[88:89] neg_lo:[1,0,0] neg_hi:[1,0,0]
	v_pk_fma_f32 v[104:105], v[26:27], s[44:45], v[88:89]
	v_pk_add_f32 v[76:77], v[0:1], v[76:77]
	v_pk_mul_f32 v[90:91], v[58:59], s[26:27]
	v_mov_b32_e32 v103, v105
	v_pk_add_f32 v[76:77], v[76:77], v[102:103]
	v_pk_fma_f32 v[102:103], v[46:47], s[20:21], v[90:91] op_sel:[1,0,0] neg_lo:[1,0,0] neg_hi:[1,0,0]
	v_pk_fma_f32 v[106:107], v[28:29], s[20:21], v[90:91]
	v_pk_mul_f32 v[92:93], v[62:63], s[12:13]
	v_mov_b32_e32 v103, v107
	v_pk_add_f32 v[76:77], v[76:77], v[102:103]
	v_pk_fma_f32 v[102:103], v[48:49], s[4:5], v[92:93] neg_lo:[1,0,0] neg_hi:[1,0,0]
	v_pk_fma_f32 v[108:109], v[30:31], s[4:5], v[92:93]
	v_pk_fma_f32 v[84:85], v[2:3], s[2:3], v[84:85] neg_lo:[0,0,1] neg_hi:[0,0,1]
	v_pk_mul_f32 v[94:95], v[64:65], s[54:55]
	v_mov_b32_e32 v103, v109
	v_mov_b32_e32 v87, v85
	v_pk_add_f32 v[76:77], v[76:77], v[102:103]
	v_pk_fma_f32 v[102:103], v[52:53], s[46:47], v[94:95] op_sel:[1,0,0] neg_lo:[1,0,0] neg_hi:[1,0,0]
	v_pk_fma_f32 v[110:111], v[32:33], s[46:47], v[94:95]
	v_pk_add_f32 v[84:85], v[0:1], v[86:87]
	v_pk_fma_f32 v[86:87], v[26:27], s[44:45], v[88:89] neg_lo:[0,0,1] neg_hi:[0,0,1]
	v_pk_mul_f32 v[96:97], v[66:67], s[38:39]
	v_mov_b32_e32 v103, v111
	v_mov_b32_e32 v105, v87
	v_pk_fma_f32 v[86:87], v[28:29], s[20:21], v[90:91] neg_lo:[0,0,1] neg_hi:[0,0,1]
	v_pk_add_f32 v[76:77], v[76:77], v[102:103]
	v_pk_fma_f32 v[102:103], v[54:55], s[36:37], v[96:97] neg_lo:[1,0,0] neg_hi:[1,0,0]
	v_pk_fma_f32 v[112:113], v[34:35], s[36:37], v[96:97]
	v_pk_add_f32 v[84:85], v[84:85], v[104:105]
	v_mov_b32_e32 v107, v87
	v_pk_fma_f32 v[86:87], v[30:31], s[4:5], v[92:93] neg_lo:[0,0,1] neg_hi:[0,0,1]
	v_pk_mul_f32 v[98:99], v[68:69], s[14:15]
	v_mov_b32_e32 v103, v113
	v_pk_add_f32 v[84:85], v[84:85], v[106:107]
	v_mov_b32_e32 v109, v87
	v_pk_fma_f32 v[86:87], v[32:33], s[46:47], v[94:95] neg_lo:[0,0,1] neg_hi:[0,0,1]
	v_pk_add_f32 v[76:77], v[76:77], v[102:103]
	v_pk_fma_f32 v[102:103], v[56:57], s[6:7], v[98:99] neg_lo:[1,0,0] neg_hi:[1,0,0]
	v_pk_fma_f32 v[114:115], v[36:37], s[6:7], v[98:99]
	v_pk_add_f32 v[84:85], v[84:85], v[108:109]
	v_mov_b32_e32 v111, v87
	v_pk_fma_f32 v[86:87], v[34:35], s[36:37], v[96:97] neg_lo:[0,0,1] neg_hi:[0,0,1]
	v_pk_mul_f32 v[100:101], v[70:71], s[24:25]
	v_mov_b32_e32 v103, v115
	v_pk_add_f32 v[84:85], v[84:85], v[110:111]
	v_mov_b32_e32 v113, v87
	v_pk_fma_f32 v[86:87], v[36:37], s[6:7], v[98:99] neg_lo:[0,0,1] neg_hi:[0,0,1]
	v_pk_add_f32 v[76:77], v[76:77], v[102:103]
	v_pk_fma_f32 v[102:103], v[60:61], s[16:17], v[100:101] op_sel:[1,0,0] neg_lo:[1,0,0] neg_hi:[1,0,0]
	v_pk_fma_f32 v[116:117], v[38:39], s[16:17], v[100:101]
	v_pk_add_f32 v[84:85], v[84:85], v[112:113]
	v_mov_b32_e32 v115, v87
	v_pk_fma_f32 v[86:87], v[38:39], s[16:17], v[100:101] neg_lo:[0,0,1] neg_hi:[0,0,1]
	v_mov_b32_e32 v103, v117
	v_pk_add_f32 v[84:85], v[84:85], v[114:115]
	v_mov_b32_e32 v117, v87
	v_pk_add_f32 v[84:85], v[84:85], v[116:117]
	global_store_dwordx2 v[72:73], v[84:85], off
	v_pk_mul_f32 v[84:85], v[22:23], s[12:13]
	v_pk_mul_f32 v[88:89], v[50:51], s[24:25]
	v_pk_fma_f32 v[72:73], v[24:25], s[4:5], v[84:85] neg_lo:[1,0,0] neg_hi:[1,0,0]
	v_pk_fma_f32 v[86:87], v[2:3], s[4:5], v[84:85]
	v_pk_add_f32 v[76:77], v[76:77], v[102:103]
	v_mov_b32_e32 v73, v87
	v_pk_fma_f32 v[102:103], v[42:43], s[16:17], v[88:89] neg_lo:[1,0,0] neg_hi:[1,0,0]
	v_pk_fma_f32 v[104:105], v[26:27], s[16:17], v[88:89]
	v_pk_add_f32 v[72:73], v[0:1], v[72:73]
	v_pk_mul_f32 v[90:91], v[58:59], s[30:31]
	v_mov_b32_e32 v103, v105
	v_pk_add_f32 v[72:73], v[72:73], v[102:103]
	v_pk_fma_f32 v[102:103], v[46:47], s[22:23], v[90:91] op_sel:[1,0,0] neg_lo:[1,0,0] neg_hi:[1,0,0]
	v_pk_fma_f32 v[106:107], v[28:29], s[22:23], v[90:91]
	v_pk_mul_f32 v[92:93], v[62:63], s[56:57]
	v_mov_b32_e32 v103, v107
	v_pk_add_f32 v[72:73], v[72:73], v[102:103]
	v_pk_fma_f32 v[102:103], v[48:49], s[52:53], v[92:93] neg_lo:[1,0,0] neg_hi:[1,0,0]
	v_pk_fma_f32 v[108:109], v[30:31], s[52:53], v[92:93]
	v_pk_fma_f32 v[84:85], v[2:3], s[4:5], v[84:85] neg_lo:[0,0,1] neg_hi:[0,0,1]
	v_pk_mul_f32 v[94:95], v[64:65], s[26:27]
	v_mov_b32_e32 v103, v109
	v_mov_b32_e32 v87, v85
	v_pk_add_f32 v[72:73], v[72:73], v[102:103]
	v_pk_fma_f32 v[102:103], v[52:53], s[20:21], v[94:95] op_sel:[1,0,0] neg_lo:[1,0,0] neg_hi:[1,0,0]
	v_pk_fma_f32 v[110:111], v[32:33], s[20:21], v[94:95]
	v_pk_add_f32 v[84:85], v[0:1], v[86:87]
	v_pk_fma_f32 v[86:87], v[26:27], s[16:17], v[88:89] neg_lo:[0,0,1] neg_hi:[0,0,1]
	v_pk_mul_f32 v[96:97], v[66:67], s[14:15]
	v_mov_b32_e32 v103, v111
	v_mov_b32_e32 v105, v87
	v_pk_fma_f32 v[86:87], v[28:29], s[22:23], v[90:91] neg_lo:[0,0,1] neg_hi:[0,0,1]
	v_pk_add_f32 v[72:73], v[72:73], v[102:103]
	v_pk_fma_f32 v[102:103], v[54:55], s[6:7], v[96:97] neg_lo:[1,0,0] neg_hi:[1,0,0]
	v_pk_fma_f32 v[112:113], v[34:35], s[6:7], v[96:97]
	v_pk_add_f32 v[84:85], v[84:85], v[104:105]
	v_mov_b32_e32 v107, v87
	v_pk_fma_f32 v[86:87], v[30:31], s[52:53], v[92:93] neg_lo:[0,0,1] neg_hi:[0,0,1]
	v_pk_mul_f32 v[98:99], v[68:69], s[40:41]
	v_mov_b32_e32 v103, v113
	v_pk_add_f32 v[84:85], v[84:85], v[106:107]
	v_mov_b32_e32 v109, v87
	v_pk_fma_f32 v[86:87], v[32:33], s[20:21], v[94:95] neg_lo:[0,0,1] neg_hi:[0,0,1]
	v_pk_add_f32 v[72:73], v[72:73], v[102:103]
	v_pk_fma_f32 v[102:103], v[56:57], s[34:35], v[98:99] neg_lo:[1,0,0] neg_hi:[1,0,0]
	v_pk_fma_f32 v[114:115], v[36:37], s[34:35], v[98:99]
	v_pk_add_f32 v[84:85], v[84:85], v[108:109]
	v_mov_b32_e32 v111, v87
	v_pk_fma_f32 v[86:87], v[34:35], s[6:7], v[96:97] neg_lo:[0,0,1] neg_hi:[0,0,1]
	v_pk_mul_f32 v[100:101], v[70:71], s[8:9]
	v_mov_b32_e32 v103, v115
	v_pk_add_f32 v[84:85], v[84:85], v[110:111]
	v_mov_b32_e32 v113, v87
	v_pk_fma_f32 v[86:87], v[36:37], s[34:35], v[98:99] neg_lo:[0,0,1] neg_hi:[0,0,1]
	v_pk_add_f32 v[72:73], v[72:73], v[102:103]
	v_pk_fma_f32 v[102:103], v[60:61], s[0:1], v[100:101] op_sel:[1,0,0] neg_lo:[1,0,0] neg_hi:[1,0,0]
	v_pk_fma_f32 v[116:117], v[38:39], s[0:1], v[100:101]
	v_pk_add_f32 v[84:85], v[84:85], v[112:113]
	v_mov_b32_e32 v115, v87
	v_pk_fma_f32 v[86:87], v[38:39], s[0:1], v[100:101] neg_lo:[0,0,1] neg_hi:[0,0,1]
	v_mov_b32_e32 v103, v117
	v_pk_add_f32 v[84:85], v[84:85], v[114:115]
	v_mov_b32_e32 v117, v87
	v_pk_add_f32 v[84:85], v[84:85], v[116:117]
	global_store_dwordx2 v[40:41], v[84:85], off
	v_pk_mul_f32 v[40:41], v[22:23], s[14:15]
	v_pk_mul_f32 v[50:51], v[50:51], s[28:29]
	v_pk_fma_f32 v[22:23], v[24:25], s[6:7], v[40:41] neg_lo:[1,0,0] neg_hi:[1,0,0]
	v_pk_fma_f32 v[84:85], v[2:3], s[6:7], v[40:41]
	v_pk_mul_f32 v[58:59], v[58:59], s[12:13]
	v_mov_b32_e32 v23, v85
	v_pk_mul_f32 v[24:25], v[68:69], s[8:9]
	v_pk_fma_f32 v[42:43], v[42:43], s[18:19], v[50:51] neg_lo:[1,0,0] neg_hi:[1,0,0]
	v_pk_fma_f32 v[68:69], v[26:27], s[18:19], v[50:51]
	v_pk_add_f32 v[86:87], v[0:1], v[22:23]
	v_pk_mul_f32 v[22:23], v[70:71], s[54:55]
	v_mov_b32_e32 v43, v69
	v_pk_fma_f32 v[46:47], v[46:47], s[4:5], v[58:59] op_sel:[1,0,0] neg_lo:[1,0,0] neg_hi:[1,0,0]
	v_pk_fma_f32 v[70:71], v[28:29], s[4:5], v[58:59]
	v_pk_mul_f32 v[62:63], v[62:63], s[40:41]
	v_pk_add_f32 v[42:43], v[86:87], v[42:43]
	v_mov_b32_e32 v47, v71
	v_pk_add_f32 v[42:43], v[42:43], v[46:47]
	v_pk_fma_f32 v[46:47], v[48:49], s[34:35], v[62:63] neg_lo:[1,0,0] neg_hi:[1,0,0]
	v_pk_fma_f32 v[48:49], v[30:31], s[34:35], v[62:63]
	v_pk_mul_f32 v[64:65], v[64:65], s[10:11]
	v_mov_b32_e32 v47, v49
	v_pk_fma_f32 v[2:3], v[2:3], s[6:7], v[40:41] neg_lo:[0,0,1] neg_hi:[0,0,1]
	v_pk_add_f32 v[42:43], v[42:43], v[46:47]
	v_pk_fma_f32 v[46:47], v[52:53], s[2:3], v[64:65] op_sel:[1,0,0] neg_lo:[1,0,0] neg_hi:[1,0,0]
	v_pk_fma_f32 v[52:53], v[32:33], s[2:3], v[64:65]
	v_mov_b32_e32 v85, v3
	v_pk_fma_f32 v[2:3], v[26:27], s[18:19], v[50:51] neg_lo:[0,0,1] neg_hi:[0,0,1]
	v_pk_mul_f32 v[66:67], v[66:67], s[24:25]
	v_mov_b32_e32 v47, v53
	v_pk_add_f32 v[0:1], v[0:1], v[84:85]
	v_mov_b32_e32 v69, v3
	v_pk_fma_f32 v[2:3], v[28:29], s[4:5], v[58:59] neg_lo:[0,0,1] neg_hi:[0,0,1]
	v_pk_add_f32 v[42:43], v[42:43], v[46:47]
	v_pk_fma_f32 v[46:47], v[54:55], s[16:17], v[66:67] neg_lo:[1,0,0] neg_hi:[1,0,0]
	v_pk_fma_f32 v[54:55], v[34:35], s[16:17], v[66:67]
	v_pk_add_f32 v[0:1], v[0:1], v[68:69]
	v_mov_b32_e32 v71, v3
	v_pk_fma_f32 v[2:3], v[30:31], s[34:35], v[62:63] neg_lo:[0,0,1] neg_hi:[0,0,1]
	v_mov_b32_e32 v47, v55
	v_pk_add_f32 v[0:1], v[0:1], v[70:71]
	v_mov_b32_e32 v49, v3
	v_pk_fma_f32 v[2:3], v[32:33], s[2:3], v[64:65] neg_lo:[0,0,1] neg_hi:[0,0,1]
	v_pk_add_f32 v[42:43], v[42:43], v[46:47]
	v_pk_fma_f32 v[46:47], v[56:57], s[0:1], v[24:25] neg_lo:[1,0,0] neg_hi:[1,0,0]
	v_pk_fma_f32 v[56:57], v[36:37], s[0:1], v[24:25]
	v_pk_add_f32 v[0:1], v[0:1], v[48:49]
	v_mov_b32_e32 v53, v3
	v_pk_fma_f32 v[2:3], v[34:35], s[16:17], v[66:67] neg_lo:[0,0,1] neg_hi:[0,0,1]
	v_mov_b32_e32 v47, v57
	v_pk_add_f32 v[0:1], v[0:1], v[52:53]
	v_mov_b32_e32 v55, v3
	v_pk_fma_f32 v[2:3], v[36:37], s[0:1], v[24:25] neg_lo:[0,0,1] neg_hi:[0,0,1]
	v_pk_add_f32 v[42:43], v[42:43], v[46:47]
	v_pk_fma_f32 v[46:47], v[60:61], s[46:47], v[22:23] op_sel:[1,0,0] neg_lo:[1,0,0] neg_hi:[1,0,0]
	v_pk_fma_f32 v[60:61], v[38:39], s[46:47], v[22:23]
	v_pk_add_f32 v[0:1], v[0:1], v[54:55]
	v_mov_b32_e32 v57, v3
	v_pk_fma_f32 v[2:3], v[38:39], s[46:47], v[22:23] neg_lo:[0,0,1] neg_hi:[0,0,1]
	v_mov_b32_e32 v47, v61
	v_pk_add_f32 v[0:1], v[0:1], v[56:57]
	v_mov_b32_e32 v61, v3
	v_pk_add_f32 v[0:1], v[0:1], v[60:61]
	v_pk_add_f32 v[72:73], v[72:73], v[102:103]
	;; [unrolled: 1-line block ×3, first 2 shown]
	global_store_dwordx2 v[4:5], v[0:1], off
	global_store_dwordx2 v[6:7], v[42:43], off
	;; [unrolled: 1-line block ×9, first 2 shown]
.LBB0_17:
	s_endpgm
	.section	.rodata,"a",@progbits
	.p2align	6, 0x0
	.amdhsa_kernel fft_rtc_back_len850_factors_10_5_17_wgs_85_tpt_85_sp_op_CI_CI_sbrr_dirReg
		.amdhsa_group_segment_fixed_size 0
		.amdhsa_private_segment_fixed_size 0
		.amdhsa_kernarg_size 104
		.amdhsa_user_sgpr_count 2
		.amdhsa_user_sgpr_dispatch_ptr 0
		.amdhsa_user_sgpr_queue_ptr 0
		.amdhsa_user_sgpr_kernarg_segment_ptr 1
		.amdhsa_user_sgpr_dispatch_id 0
		.amdhsa_user_sgpr_kernarg_preload_length 0
		.amdhsa_user_sgpr_kernarg_preload_offset 0
		.amdhsa_user_sgpr_private_segment_size 0
		.amdhsa_uses_dynamic_stack 0
		.amdhsa_enable_private_segment 0
		.amdhsa_system_sgpr_workgroup_id_x 1
		.amdhsa_system_sgpr_workgroup_id_y 0
		.amdhsa_system_sgpr_workgroup_id_z 0
		.amdhsa_system_sgpr_workgroup_info 0
		.amdhsa_system_vgpr_workitem_id 0
		.amdhsa_next_free_vgpr 118
		.amdhsa_next_free_sgpr 58
		.amdhsa_accum_offset 120
		.amdhsa_reserve_vcc 1
		.amdhsa_float_round_mode_32 0
		.amdhsa_float_round_mode_16_64 0
		.amdhsa_float_denorm_mode_32 3
		.amdhsa_float_denorm_mode_16_64 3
		.amdhsa_dx10_clamp 1
		.amdhsa_ieee_mode 1
		.amdhsa_fp16_overflow 0
		.amdhsa_tg_split 0
		.amdhsa_exception_fp_ieee_invalid_op 0
		.amdhsa_exception_fp_denorm_src 0
		.amdhsa_exception_fp_ieee_div_zero 0
		.amdhsa_exception_fp_ieee_overflow 0
		.amdhsa_exception_fp_ieee_underflow 0
		.amdhsa_exception_fp_ieee_inexact 0
		.amdhsa_exception_int_div_zero 0
	.end_amdhsa_kernel
	.text
.Lfunc_end0:
	.size	fft_rtc_back_len850_factors_10_5_17_wgs_85_tpt_85_sp_op_CI_CI_sbrr_dirReg, .Lfunc_end0-fft_rtc_back_len850_factors_10_5_17_wgs_85_tpt_85_sp_op_CI_CI_sbrr_dirReg
                                        ; -- End function
	.section	.AMDGPU.csdata,"",@progbits
; Kernel info:
; codeLenInByte = 10292
; NumSgprs: 64
; NumVgprs: 118
; NumAgprs: 0
; TotalNumVgprs: 118
; ScratchSize: 0
; MemoryBound: 0
; FloatMode: 240
; IeeeMode: 1
; LDSByteSize: 0 bytes/workgroup (compile time only)
; SGPRBlocks: 7
; VGPRBlocks: 14
; NumSGPRsForWavesPerEU: 64
; NumVGPRsForWavesPerEU: 118
; AccumOffset: 120
; Occupancy: 4
; WaveLimiterHint : 1
; COMPUTE_PGM_RSRC2:SCRATCH_EN: 0
; COMPUTE_PGM_RSRC2:USER_SGPR: 2
; COMPUTE_PGM_RSRC2:TRAP_HANDLER: 0
; COMPUTE_PGM_RSRC2:TGID_X_EN: 1
; COMPUTE_PGM_RSRC2:TGID_Y_EN: 0
; COMPUTE_PGM_RSRC2:TGID_Z_EN: 0
; COMPUTE_PGM_RSRC2:TIDIG_COMP_CNT: 0
; COMPUTE_PGM_RSRC3_GFX90A:ACCUM_OFFSET: 29
; COMPUTE_PGM_RSRC3_GFX90A:TG_SPLIT: 0
	.text
	.p2alignl 6, 3212836864
	.fill 256, 4, 3212836864
	.type	__hip_cuid_b749bc13ac19db6,@object ; @__hip_cuid_b749bc13ac19db6
	.section	.bss,"aw",@nobits
	.globl	__hip_cuid_b749bc13ac19db6
__hip_cuid_b749bc13ac19db6:
	.byte	0                               ; 0x0
	.size	__hip_cuid_b749bc13ac19db6, 1

	.ident	"AMD clang version 19.0.0git (https://github.com/RadeonOpenCompute/llvm-project roc-6.4.0 25133 c7fe45cf4b819c5991fe208aaa96edf142730f1d)"
	.section	".note.GNU-stack","",@progbits
	.addrsig
	.addrsig_sym __hip_cuid_b749bc13ac19db6
	.amdgpu_metadata
---
amdhsa.kernels:
  - .agpr_count:     0
    .args:
      - .actual_access:  read_only
        .address_space:  global
        .offset:         0
        .size:           8
        .value_kind:     global_buffer
      - .offset:         8
        .size:           8
        .value_kind:     by_value
      - .actual_access:  read_only
        .address_space:  global
        .offset:         16
        .size:           8
        .value_kind:     global_buffer
      - .actual_access:  read_only
        .address_space:  global
        .offset:         24
        .size:           8
        .value_kind:     global_buffer
      - .actual_access:  read_only
        .address_space:  global
        .offset:         32
        .size:           8
        .value_kind:     global_buffer
      - .offset:         40
        .size:           8
        .value_kind:     by_value
      - .actual_access:  read_only
        .address_space:  global
        .offset:         48
        .size:           8
        .value_kind:     global_buffer
      - .actual_access:  read_only
        .address_space:  global
        .offset:         56
        .size:           8
        .value_kind:     global_buffer
      - .offset:         64
        .size:           4
        .value_kind:     by_value
      - .actual_access:  read_only
        .address_space:  global
        .offset:         72
        .size:           8
        .value_kind:     global_buffer
      - .actual_access:  read_only
        .address_space:  global
        .offset:         80
        .size:           8
        .value_kind:     global_buffer
      - .actual_access:  read_only
        .address_space:  global
        .offset:         88
        .size:           8
        .value_kind:     global_buffer
      - .actual_access:  write_only
        .address_space:  global
        .offset:         96
        .size:           8
        .value_kind:     global_buffer
    .group_segment_fixed_size: 0
    .kernarg_segment_align: 8
    .kernarg_segment_size: 104
    .language:       OpenCL C
    .language_version:
      - 2
      - 0
    .max_flat_workgroup_size: 85
    .name:           fft_rtc_back_len850_factors_10_5_17_wgs_85_tpt_85_sp_op_CI_CI_sbrr_dirReg
    .private_segment_fixed_size: 0
    .sgpr_count:     64
    .sgpr_spill_count: 0
    .symbol:         fft_rtc_back_len850_factors_10_5_17_wgs_85_tpt_85_sp_op_CI_CI_sbrr_dirReg.kd
    .uniform_work_group_size: 1
    .uses_dynamic_stack: false
    .vgpr_count:     118
    .vgpr_spill_count: 0
    .wavefront_size: 64
amdhsa.target:   amdgcn-amd-amdhsa--gfx950
amdhsa.version:
  - 1
  - 2
...

	.end_amdgpu_metadata
